;; amdgpu-corpus repo=ROCm/aiter kind=harvested arch=n/a opt=n/a

/root/src/amdgpu-assembly/repos/ROCm__aiter/hsa/gfx942/fmha_v3_bwd/bwd_hd128_fp16_causal_a32_pssk_group.co:	file format elf64-amdgpu

Disassembly of section .text:

0000000000003e00 <_ZN5aiter41fmha_bwd_hd128_fp16_causal_a32_pssk_groupE>:
	s_and_b32 s1, s1, 0xffff                                   // 000000003E00: 8601FF01 0000FFFF
	s_load_dwordx2 s[32:33], s[0:1], 0x0                       // 000000003E08: C0060800 00000000
	s_load_dwordx2 s[36:37], s[0:1], 0x10                      // 000000003E10: C0060900 00000010
	s_load_dwordx2 s[40:41], s[0:1], 0x20                      // 000000003E18: C0060A00 00000020
	s_load_dwordx2 s[8:9], s[0:1], 0x30                        // 000000003E20: C0060200 00000030
	s_load_dwordx2 s[12:13], s[0:1], 0x40                      // 000000003E28: C0060300 00000040
	s_load_dwordx2 s[16:17], s[0:1], 0x50                      // 000000003E30: C0060400 00000050
	s_load_dwordx2 s[20:21], s[0:1], 0x60                      // 000000003E38: C0060500 00000060
	s_load_dwordx2 s[24:25], s[0:1], 0x70                      // 000000003E40: C0060600 00000070
	s_load_dwordx2 s[28:29], s[0:1], 0x80                      // 000000003E48: C0060700 00000080
	s_load_dword s47, s[0:1], 0x90                             // 000000003E50: C0020BC0 00000090
	s_load_dword s48, s[0:1], 0xa0                             // 000000003E58: C0020C00 000000A0
	s_load_dword s78, s[0:1], 0xd0                             // 000000003E60: C0021380 000000D0
	s_load_dword s5, s[0:1], 0xf0                              // 000000003E68: C0020140 000000F0
	s_load_dword s44, s[0:1], 0x100                            // 000000003E70: C0020B00 00000100
	s_load_dword s79, s[0:1], 0x110                            // 000000003E78: C00213C0 00000110
	s_load_dword s6, s[0:1], 0x130                             // 000000003E80: C0020180 00000130
	s_load_dword s52, s[0:1], 0x140                            // 000000003E88: C0020D00 00000140
	s_load_dword s50, s[0:1], 0x160                            // 000000003E90: C0020C80 00000160
	s_load_dword s80, s[0:1], 0x190                            // 000000003E98: C0021400 00000190
	s_load_dword s7, s[0:1], 0x1b0                             // 000000003EA0: C00201C0 000001B0
	s_load_dword s81, s[0:1], 0x1c0                            // 000000003EA8: C0021440 000001C0
	s_load_dword s51, s[0:1], 0x1e0                            // 000000003EB0: C0020CC0 000001E0
	s_load_dword s82, s[0:1], 0x1f0                            // 000000003EB8: C0021480 000001F0
	s_load_dword s83, s[0:1], 0x210                            // 000000003EC0: C00214C0 00000210
	s_load_dword s53, s[0:1], 0x230                            // 000000003EC8: C0020D40 00000230
	s_load_dword s49, s[0:1], 0x240                            // 000000003ED0: C0020C40 00000240
	s_load_dwordx2 s[88:89], s[0:1], 0x250                     // 000000003ED8: C0061600 00000250
	s_load_dwordx2 s[92:93], s[0:1], 0x260                     // 000000003EE0: C0061700 00000260
	s_load_dwordx2 s[96:97], s[0:1], 0x270                     // 000000003EE8: C0061800 00000270
	s_load_dwordx2 s[100:101], s[0:1], 0x280                   // 000000003EF0: C0061900 00000280
	v_lshrrev_b32_e32 v1, 10, v0                               // 000000003EF8: 2002008A
	v_lshrrev_b32_e32 v2, 10, v1                               // 000000003EFC: 2004028A
	v_and_b32_e32 v2, 0x3ff, v2                                // 000000003F00: 260404FF 000003FF
	v_and_b32_e32 v1, 0x3ff, v1                                // 000000003F08: 260202FF 000003FF
	v_and_b32_e32 v0, 0x3ff, v0                                // 000000003F10: 260000FF 000003FF
	v_lshrrev_b32_e32 v3, 6, v0                                // 000000003F18: 20060086
	v_and_b32_e32 v0, 63, v0                                   // 000000003F1C: 260000BF
	s_mov_b32 s2, s2                                           // 000000003F20: BE820002
	s_mov_b32 s3, s3                                           // 000000003F24: BE830003
	s_mov_b32 s4, s4                                           // 000000003F28: BE840004
	v_readfirstlane_b32 s46, v3                                // 000000003F2C: 7E5C0503
	s_waitcnt lgkmcnt(0)                                       // 000000003F30: BF8CC07F
	s_mul_i32 s60, s4, 4                                       // 000000003F34: 923C8404
	s_add_u32 s88, s60, s88                                    // 000000003F38: 8058583C
	s_addc_u32 s89, 0, s89                                     // 000000003F3C: 82595980
	s_load_dwordx2 s[84:85], s[88:89], 0x0                     // 000000003F40: C006152C 00000000
	s_add_u32 s96, s60, s96                                    // 000000003F48: 8060603C
	s_addc_u32 s97, 0, s97                                     // 000000003F4C: 82616180
	s_load_dword s90, s[96:97], 0x0                            // 000000003F50: C00216B0 00000000
	s_add_u32 s92, s60, s92                                    // 000000003F58: 805C5C3C
	s_addc_u32 s93, 0, s93                                     // 000000003F5C: 825D5D80
	s_load_dwordx2 s[86:87], s[92:93], 0x0                     // 000000003F60: C00615AE 00000000
	s_add_u32 s100, s60, s100                                  // 000000003F68: 8064643C
	s_addc_u32 s101, 0, s101                                   // 000000003F6C: 82656580
	s_load_dword s94, s[100:101], 0x0                          // 000000003F70: C00217B2 00000000
	s_mov_b32 s11, 0x20000                                     // 000000003F78: BE8B00FF 00020000
	s_mov_b32 s15, 0x20000                                     // 000000003F80: BE8F00FF 00020000
	s_mov_b32 s19, 0x20000                                     // 000000003F88: BE9300FF 00020000
	s_mov_b32 s23, 0x20000                                     // 000000003F90: BE9700FF 00020000
	s_mov_b32 s27, 0x20000                                     // 000000003F98: BE9B00FF 00020000
	s_mov_b32 s31, 0x20000                                     // 000000003FA0: BE9F00FF 00020000
	s_mov_b32 s35, 0x20000                                     // 000000003FA8: BEA300FF 00020000
	s_mov_b32 s39, 0x20000                                     // 000000003FB0: BEA700FF 00020000
	s_mov_b32 s43, 0x20000                                     // 000000003FB8: BEAB00FF 00020000
	s_and_b32 s9, s9, 0xffff                                   // 000000003FC0: 8609FF09 0000FFFF
	s_and_b32 s13, s13, 0xffff                                 // 000000003FC8: 860DFF0D 0000FFFF
	s_and_b32 s17, s17, 0xffff                                 // 000000003FD0: 8611FF11 0000FFFF
	s_and_b32 s21, s21, 0xffff                                 // 000000003FD8: 8615FF15 0000FFFF
	s_and_b32 s25, s25, 0xffff                                 // 000000003FE0: 8619FF19 0000FFFF
	s_and_b32 s29, s29, 0xffff                                 // 000000003FE8: 861DFF1D 0000FFFF
	s_and_b32 s33, s33, 0xffff                                 // 000000003FF0: 8621FF21 0000FFFF
	s_and_b32 s37, s37, 0xffff                                 // 000000003FF8: 8625FF25 0000FFFF
	s_and_b32 s41, s41, 0xffff                                 // 000000004000: 8629FF29 0000FFFF
	s_or_b32 s9, s9, 0x40000                                   // 000000004008: 8709FF09 00040000
	s_or_b32 s13, s13, 0x40000                                 // 000000004010: 870DFF0D 00040000
	s_or_b32 s17, s17, 0x40000                                 // 000000004018: 8711FF11 00040000
	s_or_b32 s21, s21, 0x40000                                 // 000000004020: 8715FF15 00040000
	s_or_b32 s25, s25, 0x40000                                 // 000000004028: 8719FF19 00040000
	s_or_b32 s29, s29, 0x40000                                 // 000000004030: 871DFF1D 00040000
	s_or_b32 s33, s33, 0x40000                                 // 000000004038: 8721FF21 00040000
	s_or_b32 s37, s37, 0x40000                                 // 000000004040: 8725FF25 00040000
	s_or_b32 s41, s41, 0x40000                                 // 000000004048: 8729FF29 00040000
	v_accvgpr_write_b32 a255, 0                                // 000000004050: D3D940FF 18000080
	v_mov_b32_e32 v251, 0                                      // 000000004058: 7FF60280
	s_mov_b32 s71, s3                                          // 00000000405C: BEC70003
	v_cvt_f32_u32_e32 v28, s44                                 // 000000004060: 7E380C2C
	s_sub_i32 s60, 0, s44                                      // 000000004064: 81BC2C80
	v_rcp_iflag_f32_e32 v28, v28                               // 000000004068: 7E38471C
	s_nop 0                                                    // 00000000406C: BF800000
	v_mul_f32_e32 v28, 0x4f7ffffe, v28                         // 000000004070: 0A3838FF 4F7FFFFE
	v_cvt_u32_f32_e32 v28, v28                                 // 000000004078: 7E380F1C
	v_mul_lo_u32 v29, s60, v28                                 // 00000000407C: D285001D 0002383C
	v_mul_hi_u32 v29, v28, v29                                 // 000000004084: D286001D 00023B1C
	v_add_u32_e32 v28, v28, v29                                // 00000000408C: 68383B1C
	v_mul_hi_u32 v28, s71, v28                                 // 000000004090: D286001C 00023847
	v_mul_lo_u32 v29, v28, s44                                 // 000000004098: D285001D 0000591C
	v_sub_u32_e32 v31, s71, v29                                // 0000000040A0: 6A3E3A47
	v_add_u32_e32 v30, 1, v28                                  // 0000000040A4: 683C3881
	v_cmp_le_u32_e32 vcc, s44, v31                             // 0000000040A8: 7D963E2C
	v_subrev_u32_e32 v29, s44, v31                             // 0000000040AC: 6C3A3E2C
	s_nop 0                                                    // 0000000040B0: BF800000
	v_cndmask_b32_e32 v28, v28, v30, vcc                       // 0000000040B4: 00383D1C
	v_cndmask_b32_e32 v31, v31, v29, vcc                       // 0000000040B8: 003E3B1F
	v_add_u32_e32 v29, 1, v28                                  // 0000000040BC: 683A3881
	v_cmp_le_u32_e32 vcc, s44, v31                             // 0000000040C0: 7D963E2C
	s_nop 1                                                    // 0000000040C4: BF800001
	v_cndmask_b32_e32 v31, v28, v29, vcc                       // 0000000040C8: 003E3B1C
	s_nop 3                                                    // 0000000040CC: BF800003
	v_readfirstlane_b32 s45, v31                               // 0000000040D0: 7E5A051F
	s_nop 3                                                    // 0000000040D4: BF800003
	s_waitcnt lgkmcnt(0)                                       // 0000000040D8: BF8CC07F
	s_mul_i32 s61, s2, 0x180                                   // 0000000040DC: 923DFF02 00000180
	s_sub_i32 s87, s87, s86                                    // 0000000040E4: 81D75657
	s_mov_b32 s86, s94                                         // 0000000040E8: BED6005E
	s_sub_i32 s85, s85, s84                                    // 0000000040EC: 81D55455
	s_mov_b32 s84, s90                                         // 0000000040F0: BED4005A
	s_cmp_gt_i32 s85, 0                                        // 0000000040F4: BF028055
	s_cbranch_scc0 label_187B                                  // 0000000040F8: BF8417A8
	s_mov_b32 s59, 0                                           // 0000000040FC: BEBB0080
	s_mov_b32 s58, s85                                         // 000000004100: BEBA0055
	s_cmp_ge_i32 s61, s87                                      // 000000004104: BF03573D
	s_cbranch_scc1 label_187B                                  // 000000004108: BF8517A4
	s_mul_i32 s61, s45, s79                                    // 00000000410C: 923D4F2D
	s_mov_b32 s54, s61                                         // 000000004110: BEB6003D
	s_add_u32 s12, s54, s12                                    // 000000004114: 800C0C36
	s_addc_u32 s13, 0, s13                                     // 000000004118: 820D0D80
	s_mul_i32 s60, s86, s6                                     // 00000000411C: 923C0656
	s_mul_hi_u32 s61, s86, s6                                  // 000000004120: 963D0656
	s_and_b32 s61, s61, 0xffff                                 // 000000004124: 863DFF3D 0000FFFF
	s_add_u32 s12, s12, s60                                    // 00000000412C: 800C3C0C
	s_addc_u32 s13, s13, s61                                   // 000000004130: 820D3D0D
	s_mul_i32 s61, s45, s80                                    // 000000004134: 923D502D
	s_mov_b32 s54, s61                                         // 000000004138: BEB6003D
	s_add_u32 s16, s54, s16                                    // 00000000413C: 80101036
	s_addc_u32 s17, 0, s17                                     // 000000004140: 82111180
	s_mul_i32 s60, s86, s7                                     // 000000004144: 923C0756
	s_mul_hi_u32 s61, s86, s7                                  // 000000004148: 963D0756
	s_and_b32 s61, s61, 0xffff                                 // 00000000414C: 863DFF3D 0000FFFF
	s_add_u32 s16, s16, s60                                    // 000000004154: 80103C10
	s_addc_u32 s17, s17, s61                                   // 000000004158: 82113D11
	s_mul_i32 s61, s3, s78                                     // 00000000415C: 923D4E03
	s_mov_b32 s55, s61                                         // 000000004160: BEB7003D
	s_add_u32 s8, s55, s8                                      // 000000004164: 80080837
	s_addc_u32 s9, 0, s9                                       // 000000004168: 82090980
	s_mul_i32 s60, s84, s5                                     // 00000000416C: 923C0554
	s_mul_hi_u32 s61, s84, s5                                  // 000000004170: 963D0554
	s_and_b32 s61, s61, 0xffff                                 // 000000004174: 863DFF3D 0000FFFF
	s_add_u32 s8, s8, s60                                      // 00000000417C: 80083C08
	s_addc_u32 s9, s9, s61                                     // 000000004180: 82093D09
	s_mul_i32 s61, s3, s81                                     // 000000004184: 923D5103
	s_mov_b32 s56, s61                                         // 000000004188: BEB8003D
	s_add_u32 s20, s56, s20                                    // 00000000418C: 80141438
	s_addc_u32 s21, 0, s21                                     // 000000004190: 82151580
	s_mul_i32 s60, s84, s51                                    // 000000004194: 923C3354
	s_mul_hi_u32 s61, s84, s51                                 // 000000004198: 963D3354
	s_and_b32 s61, s61, 0xffff                                 // 00000000419C: 863DFF3D 0000FFFF
	s_add_u32 s20, s20, s60                                    // 0000000041A4: 80143C14
	s_addc_u32 s21, s21, s61                                   // 0000000041A8: 82153D15
	s_mul_i32 s62, 4, s84                                      // 0000000041AC: 923E5484
	s_mul_i32 s61, s3, s49                                     // 0000000041B0: 923D3103
	s_add_u32 s65, s61, s62                                    // 0000000041B4: 80413E3D
	s_mov_b32 s26, s85                                         // 0000000041B8: BE9A0055
	s_mov_b32 s30, s85                                         // 0000000041BC: BE9E0055
	s_add_u32 s24, s65, s24                                    // 0000000041C0: 80181841
	s_addc_u32 s25, 0, s25                                     // 0000000041C4: 82191980
	s_add_u32 s28, s65, s28                                    // 0000000041C8: 801C1C41
	s_addc_u32 s29, 0, s29                                     // 0000000041CC: 821D1D80
	s_mul_i32 s61, s3, s82                                     // 0000000041D0: 923D5203
	s_mul_i32 s62, s86, s52                                    // 0000000041D4: 923E3456
	s_add_u32 s60, s61, s62                                    // 0000000041D8: 803C3E3D
	s_mul_hi_u32 s61, s86, s52                                 // 0000000041DC: 963D3456
	s_and_b32 s61, s61, 0xffff                                 // 0000000041E0: 863DFF3D 0000FFFF
	s_add_u32 s36, s60, s36                                    // 0000000041E8: 8024243C
	s_addc_u32 s37, s61, s37                                   // 0000000041EC: 8225253D
	s_mul_i32 s60, s87, s52                                    // 0000000041F0: 923C3457
	s_lshr_b32 s60, s60, 2                                     // 0000000041F4: 8F3C823C
	s_mov_b32 s38, s60                                         // 0000000041F8: BEA6003C
	s_mul_i32 s61, s3, s83                                     // 0000000041FC: 923D5303
	s_mul_i32 s62, s86, s53                                    // 000000004200: 923E3556
	s_add_u32 s60, s61, s62                                    // 000000004204: 803C3E3D
	s_mul_hi_u32 s61, s86, s53                                 // 000000004208: 963D3556
	s_and_b32 s61, s61, 0xffff                                 // 00000000420C: 863DFF3D 0000FFFF
	s_add_u32 s40, s60, s40                                    // 000000004214: 8028283C
	s_addc_u32 s41, s61, s41                                   // 000000004218: 8229293D
	s_mul_i32 s60, s87, s53                                    // 00000000421C: 923C3557
	s_lshr_b32 s60, s60, 2                                     // 000000004220: 8F3C823C
	s_mov_b32 s42, s60                                         // 000000004224: BEAA003C
	s_mul_i32 s60, s50, s65                                    // 000000004228: 923C4132
	s_mul_hi_u32 s62, s50, s65                                 // 00000000422C: 963E4132
	s_and_b32 s62, s62, 0xffff                                 // 000000004230: 863EFF3E 0000FFFF
	s_add_u32 s32, s60, s32                                    // 000000004238: 8020203C
	s_addc_u32 s33, s62, s33                                   // 00000000423C: 8221213E
	s_mul_i32 s60, s50, s85                                    // 000000004240: 923C5532
	s_lshl_b32 s60, s60, 2                                     // 000000004244: 8E3C823C
	s_mov_b32 s34, s60                                         // 000000004248: BEA2003C
	s_mov_b32 s90, s8                                          // 00000000424C: BEDA0008
	s_mov_b32 s94, s12                                         // 000000004250: BEDE000C
	s_mov_b32 s96, s16                                         // 000000004254: BEE00010
	s_mov_b32 s98, s20                                         // 000000004258: BEE20014
	s_mov_b32 s91, s9                                          // 00000000425C: BEDB0009
	s_mov_b32 s95, s13                                         // 000000004260: BEDF000D
	s_mov_b32 s97, s17                                         // 000000004264: BEE10011
	s_mov_b32 s99, s21                                         // 000000004268: BEE30015
	s_add_u32 s71, 0xbf, s87                                   // 00000000426C: 804757FF 000000BF
	s_mov_b32 s74, 0xc0                                        // 000000004274: BECA00FF 000000C0
	v_cvt_f32_u32_e32 v28, s74                                 // 00000000427C: 7E380C4A
	s_sub_i32 s60, 0, s74                                      // 000000004280: 81BC4A80
	v_rcp_iflag_f32_e32 v28, v28                               // 000000004284: 7E38471C
	s_nop 0                                                    // 000000004288: BF800000
	v_mul_f32_e32 v28, 0x4f7ffffe, v28                         // 00000000428C: 0A3838FF 4F7FFFFE
	v_cvt_u32_f32_e32 v28, v28                                 // 000000004294: 7E380F1C
	v_mul_lo_u32 v29, s60, v28                                 // 000000004298: D285001D 0002383C
	v_mul_hi_u32 v29, v28, v29                                 // 0000000042A0: D286001D 00023B1C
	v_add_u32_e32 v28, v28, v29                                // 0000000042A8: 68383B1C
	v_mul_hi_u32 v28, s71, v28                                 // 0000000042AC: D286001C 00023847
	v_mul_lo_u32 v29, v28, s74                                 // 0000000042B4: D285001D 0000951C
	v_sub_u32_e32 v31, s71, v29                                // 0000000042BC: 6A3E3A47
	v_add_u32_e32 v30, 1, v28                                  // 0000000042C0: 683C3881
	v_cmp_le_u32_e32 vcc, s74, v31                             // 0000000042C4: 7D963E4A
	v_subrev_u32_e32 v29, s74, v31                             // 0000000042C8: 6C3A3E4A
	s_nop 0                                                    // 0000000042CC: BF800000
	v_cndmask_b32_e32 v28, v28, v30, vcc                       // 0000000042D0: 00383D1C
	v_cndmask_b32_e32 v31, v31, v29, vcc                       // 0000000042D4: 003E3B1F
	v_add_u32_e32 v29, 1, v28                                  // 0000000042D8: 683A3881
	v_cmp_le_u32_e32 vcc, s74, v31                             // 0000000042DC: 7D963E4A
	s_nop 1                                                    // 0000000042E0: BF800001
	v_cndmask_b32_e32 v31, v28, v29, vcc                       // 0000000042E4: 003E3B1C
	s_nop 3                                                    // 0000000042E8: BF800003
	v_readfirstlane_b32 s77, v31                               // 0000000042EC: 7E9A051F
	s_nop 3                                                    // 0000000042F0: BF800003
	v_mov_b32_e32 v28, s47                                     // 0000000042F4: 7E38022F
	v_mul_f32_e32 v28, s48, v28                                // 0000000042F8: 0A383830
	s_mov_b32 s63, 0x5040100                                   // 0000000042FC: BEBF00FF 05040100
	s_mov_b32 s64, 0x7060302                                   // 000000004304: BEC000FF 07060302
	v_readfirstlane_b32 s57, v28                               // 00000000430C: 7E72051C
	v_mov_b32_e32 v30, 0x3020706                               // 000000004310: 7E3C02FF 03020706
	v_mov_b32_e32 v28, s63                                     // 000000004318: 7E38023F
	v_and_b32_e32 v29, 1, v0                                   // 00000000431C: 263A0081
	v_cmp_eq_u32_e32 vcc, 1, v29                               // 000000004320: 7D943A81
	s_mul_i32 s60, s50, 64                                     // 000000004324: 923CC032
	s_mov_b32 s67, s60                                         // 000000004328: BEC3003C
	v_cndmask_b32_e32 v15, v28, v30, vcc                       // 00000000432C: 001E3D1C
	s_cmp_lt_u32 s46, 2                                        // 000000004330: BF0A822E
	s_cselect_b32 s24, s24, s28                                // 000000004334: 85181C18
	s_cselect_b32 s25, s25, s29                                // 000000004338: 85191D19
	s_cselect_b32 s26, s26, s30                                // 00000000433C: 851A1E1A
	s_cselect_b32 s27, s27, s31                                // 000000004340: 851B1F1B
	s_lshr_b32 s60, s46, 1                                     // 000000004344: 8F3C812E
	s_lshl_b32 s60, s60, 8                                     // 000000004348: 8E3C883C
	s_add_u32 s78, 0xc600, s60                                 // 00000000434C: 804E3CFF 0000C600
	s_add_u32 s79, 0x200, s78                                  // 000000004354: 804F4EFF 00000200
	s_mov_b32 s75, 0                                           // 00000000435C: BECB0080
	s_mov_b32 s76, 1                                           // 000000004360: BECC0081
	s_lshl_b32 s60, s2, 1                                      // 000000004364: 8E3C8102
	s_add_u32 s60, 1, s60                                      // 000000004368: 803C3C81
	s_cmp_ge_i32 s60, s77                                      // 00000000436C: BF034D3C
	s_cselect_b32 s76, s76, 2                                  // 000000004370: 854C824C

0000000000004374 <label_015D>:
	s_mov_b32 m0, s78                                          // 000000004374: BEFC004E
	s_mov_b32 s66, 0                                           // 000000004378: BEC20080
	v_mov_b32_e32 v151, 0xff800000                             // 00000000437C: 7F2E02FF FF800000
	s_mov_b32 s74, 0                                           // 000000004384: BECA0080
	s_mul_i32 s68, 4, s5                                       // 000000004388: 92440584
	s_mul_i32 s100, 4, s51                                     // 00000000438C: 92643384
	s_mov_b32 s69, 16                                          // 000000004390: BEC50090
	s_mul_i32 s59, 0xc0, s2                                    // 000000004394: 923B02FF 000000C0
	s_mul_i32 s54, s6, s59                                     // 00000000439C: 92363B06
	s_sub_i32 s61, s87, s59                                    // 0000000043A0: 81BD3B57
	s_mul_i32 s62, s6, s61                                     // 0000000043A4: 923E3D06
	s_lshr_b32 s62, s62, 2                                     // 0000000043A8: 8F3E823E
	s_mov_b32 s14, s62                                         // 0000000043AC: BE8E003E
	s_add_u32 s12, s54, s94                                    // 0000000043B0: 800C5E36
	s_addc_u32 s13, 0, s95                                     // 0000000043B4: 820D5F80
	s_mul_i32 s54, s7, s59                                     // 0000000043B8: 92363B07
	s_mul_i32 s62, s7, s61                                     // 0000000043BC: 923E3D07
	s_lshr_b32 s62, s62, 2                                     // 0000000043C0: 8F3E823E
	s_mov_b32 s18, s62                                         // 0000000043C4: BE92003E
	s_add_u32 s16, s54, s96                                    // 0000000043C8: 80106036
	s_addc_u32 s17, 0, s97                                     // 0000000043CC: 82116180
	s_mov_b32 s71, s6                                          // 0000000043D0: BEC70006
	v_lshrrev_b32_e32 v28, 4, v0                               // 0000000043D4: 20380084
	v_and_b32_e32 v29, 1, v28                                  // 0000000043D8: 263A3881
	v_lshlrev_b32_e32 v29, 1, v29                              // 0000000043DC: 243A3A81
	v_mul_i32_i24_e32 v29, s71, v29                            // 0000000043E0: 0C3A3A47
	v_and_b32_e32 v30, 2, v28                                  // 0000000043E4: 263C3882
	v_lshlrev_b32_e32 v30, 5, v30                              // 0000000043E8: 243C3C85
	v_add_u32_e32 v29, v30, v29                                // 0000000043EC: 683A3B1E
	v_and_b32_e32 v28, 15, v0                                  // 0000000043F0: 2638008F
	v_lshlrev_b32_e32 v28, 2, v28                              // 0000000043F4: 24383882
	v_add_u32_e32 v1, v28, v29                                 // 0000000043F8: 68023B1C
	s_and_b32 s60, 1, s46                                      // 0000000043FC: 863C2E81
	s_mul_i32 s60, s60, s71                                    // 000000004400: 923C473C
	s_mul_i32 s60, s60, 8                                      // 000000004404: 923C883C
	s_lshr_b32 s61, s46, 1                                     // 000000004408: 8F3D812E
	s_mul_i32 s61, s61, 0x80                                   // 00000000440C: 923DFF3D 00000080
	s_add_u32 s60, s60, s61                                    // 000000004414: 803C3D3C
	v_add_u32_e32 v1, s60, v1                                  // 000000004418: 6802023C
	v_add_u32_e32 v2, s71, v1                                  // 00000000441C: 68040247
	s_mul_i32 s60, 4, s71                                      // 000000004420: 923C4784
	v_add_u32_e32 v3, s60, v1                                  // 000000004424: 6806023C
	v_add_u32_e32 v4, s60, v2                                  // 000000004428: 6808043C
	s_mov_b32 s71, s7                                          // 00000000442C: BEC70007
	v_lshrrev_b32_e32 v28, 4, v0                               // 000000004430: 20380084
	v_and_b32_e32 v29, 1, v28                                  // 000000004434: 263A3881
	v_lshlrev_b32_e32 v29, 1, v29                              // 000000004438: 243A3A81
	v_mul_i32_i24_e32 v29, s71, v29                            // 00000000443C: 0C3A3A47
	v_and_b32_e32 v30, 2, v28                                  // 000000004440: 263C3882
	v_lshlrev_b32_e32 v30, 5, v30                              // 000000004444: 243C3C85
	v_add_u32_e32 v29, v30, v29                                // 000000004448: 683A3B1E
	v_and_b32_e32 v28, 15, v0                                  // 00000000444C: 2638008F
	v_lshlrev_b32_e32 v28, 2, v28                              // 000000004450: 24383882
	v_add_u32_e32 v248, v28, v29                               // 000000004454: 69F03B1C
	s_and_b32 s60, 1, s46                                      // 000000004458: 863C2E81
	s_mul_i32 s60, s60, s71                                    // 00000000445C: 923C473C
	s_mul_i32 s60, s60, 8                                      // 000000004460: 923C883C
	s_lshr_b32 s61, s46, 1                                     // 000000004464: 8F3D812E
	s_mul_i32 s61, s61, 0x80                                   // 000000004468: 923DFF3D 00000080
	s_add_u32 s60, s60, s61                                    // 000000004470: 803C3D3C
	v_add_u32_e32 v248, s60, v248                              // 000000004474: 69F1F03C
	v_add_u32_e32 v249, s71, v248                              // 000000004478: 69F3F047
	s_mul_i32 s60, 4, s71                                      // 00000000447C: 923C4784
	v_add_u32_e32 v250, s60, v248                              // 000000004480: 69F5F03C
	v_add_u32_e32 v251, s60, v249                              // 000000004484: 69F7F23C
	v_lshrrev_b32_e32 v1, 2, v1                                // 000000004488: 20020282
	v_lshrrev_b32_e32 v2, 2, v2                                // 00000000448C: 20040482
	v_lshrrev_b32_e32 v3, 2, v3                                // 000000004490: 20060682
	v_lshrrev_b32_e32 v4, 2, v4                                // 000000004494: 20080882
	v_lshrrev_b32_e32 v248, 2, v248                            // 000000004498: 21F1F082
	v_lshrrev_b32_e32 v249, 2, v249                            // 00000000449C: 21F3F282
	v_lshrrev_b32_e32 v250, 2, v250                            // 0000000044A0: 21F5F482
	v_lshrrev_b32_e32 v251, 2, v251                            // 0000000044A4: 21F7F682
	s_mov_b32 s70, s52                                         // 0000000044A8: BEC60034
	v_lshrrev_b32_e32 v28, 4, v0                               // 0000000044AC: 20380084
	v_mul_i32_i24_e32 v5, s70, v28                             // 0000000044B0: 0C0A3846
	v_lshrrev_b32_e32 v5, 2, v5                                // 0000000044B4: 200A0A82
	v_and_b32_e32 v28, 15, v0                                  // 0000000044B8: 2638008F
	v_lshlrev_b32_e32 v29, 2, v28                              // 0000000044BC: 243A3882
	v_add_u32_e32 v5, v29, v5                                  // 0000000044C0: 680A0B1D
	s_mul_i32 s60, 16, s70                                     // 0000000044C4: 923C4690
	s_mul_i32 s60, s46, s60                                    // 0000000044C8: 923C3C2E
	v_lshlrev_b32_e32 v5, 2, v5                                // 0000000044CC: 240A0A82
	v_add_u32_e32 v5, s60, v5                                  // 0000000044D0: 680A0A3C
	s_mul_i32 s60, s52, s59                                    // 0000000044D4: 923C3B34
	v_add_u32_e32 v5, s60, v5                                  // 0000000044D8: 680A0A3C
	v_lshrrev_b32_e32 v5, 2, v5                                // 0000000044DC: 200A0A82
	s_mov_b32 s70, s53                                         // 0000000044E0: BEC60035
	v_lshrrev_b32_e32 v28, 4, v0                               // 0000000044E4: 20380084
	v_mul_i32_i24_e32 v6, s70, v28                             // 0000000044E8: 0C0C3846
	v_lshrrev_b32_e32 v6, 2, v6                                // 0000000044EC: 200C0C82
	v_and_b32_e32 v28, 15, v0                                  // 0000000044F0: 2638008F
	v_lshlrev_b32_e32 v29, 2, v28                              // 0000000044F4: 243A3882
	v_add_u32_e32 v6, v29, v6                                  // 0000000044F8: 680C0D1D
	s_mul_i32 s60, 16, s70                                     // 0000000044FC: 923C4690
	s_mul_i32 s60, s46, s60                                    // 000000004500: 923C3C2E
	v_lshlrev_b32_e32 v6, 2, v6                                // 000000004504: 240C0C82
	v_add_u32_e32 v6, s60, v6                                  // 000000004508: 680C0C3C
	s_mul_i32 s60, s53, s59                                    // 00000000450C: 923C3B35
	v_add_u32_e32 v6, s60, v6                                  // 000000004510: 680C0C3C
	v_lshrrev_b32_e32 v6, 2, v6                                // 000000004514: 200C0C82
	s_cmp_ge_i32 s59, s85                                      // 000000004518: BF03553B
	s_cselect_b32 s59, s85, s59                                // 00000000451C: 853B3B55
	s_add_u32 s73, 16, s59                                     // 000000004520: 80493B90
	s_mul_i32 s55, s5, s59                                     // 000000004524: 92373B05
	s_sub_i32 s61, s85, s59                                    // 000000004528: 81BD3B55
	s_mul_i32 s62, s5, s61                                     // 00000000452C: 923E3D05
	s_lshr_b32 s62, s62, 2                                     // 000000004530: 8F3E823E
	s_mov_b32 s10, s62                                         // 000000004534: BE8A003E
	s_add_u32 s8, s55, s90                                     // 000000004538: 80085A37
	s_addc_u32 s9, 0, s91                                      // 00000000453C: 82095B80
	s_mul_i32 s56, s51, s59                                    // 000000004540: 92383B33
	s_mul_i32 s62, s51, s61                                    // 000000004544: 923E3D33
	s_lshr_b32 s62, s62, 2                                     // 000000004548: 8F3E823E
	s_mov_b32 s22, s62                                         // 00000000454C: BE96003E
	s_add_u32 s20, s56, s98                                    // 000000004550: 80146238
	s_addc_u32 s21, 0, s99                                     // 000000004554: 82156380
	s_mul_i32 s65, s59, 4                                      // 000000004558: 9241843B
	v_and_b32_e32 v9, 15, v0                                   // 00000000455C: 2612008F
	v_lshlrev_b32_e32 v9, 2, v9                                // 000000004560: 24121282
	v_add_u32_e32 v9, s65, v9                                  // 000000004564: 68121241
	v_lshrrev_b32_e32 v9, 2, v9                                // 000000004568: 20121282
	v_lshrrev_b32_e32 v28, 5, v0                               // 00000000456C: 20380085
	v_mul_i32_i24_e64 v29, s50, 2                              // 000000004570: D106001D 00010432
	v_mul_i32_i24_e32 v7, v29, v28                             // 000000004578: 0C0E391D
	v_and_b32_e32 v28, 31, v0                                  // 00000000457C: 2638009F
	v_add_u32_e32 v7, v28, v7                                  // 000000004580: 680E0F1C
	s_mul_i32 s60, 4, s50                                      // 000000004584: 923C3284
	s_mul_i32 s60, s46, s60                                    // 000000004588: 923C3C2E
	v_add_u32_e32 v7, s60, v7                                  // 00000000458C: 680E0E3C
	v_lshlrev_b32_e32 v7, 2, v7                                // 000000004590: 240E0E82
	v_mul_i32_i24_e32 v29, 2, v29                              // 000000004594: 0C3A3A82
	v_add_u32_e32 v8, v29, v7                                  // 000000004598: 68100F1D
	s_mul_i32 s60, s50, s65                                    // 00000000459C: 923C4132
	v_add_u32_e32 v7, s60, v7                                  // 0000000045A0: 680E0E3C
	v_add_u32_e32 v8, s60, v8                                  // 0000000045A4: 6810103C
	s_mul_i32 s60, 3, s2                                       // 0000000045A8: 923C0283
	s_add_u32 s61, s87, 63                                     // 0000000045AC: 803DBF57
	s_lshr_b32 s61, s61, 6                                     // 0000000045B0: 8F3D863D
	s_sub_i32 s72, s61, s60                                    // 0000000045B4: 81C83C3D
	s_cmp_lt_i32 s72, 3                                        // 0000000045B8: BF048348
	s_cselect_b32 s72, s72, 3                                  // 0000000045BC: 85488348
	s_mul_i32 s60, 0xc0, s2                                    // 0000000045C0: 923C02FF 000000C0
	s_sub_i32 s84, s87, s60                                    // 0000000045C8: 81D43C57
	v_and_b32_e32 v28, 31, v0                                  // 0000000045CC: 2638009F
	v_lshrrev_b32_e32 v28, 1, v28                              // 0000000045D0: 20383881
	v_and_b32_e32 v29, 1, v28                                  // 0000000045D4: 263A3881
	v_lshlrev_b32_e32 v29, 4, v29                              // 0000000045D8: 243A3A84
	v_and_b32_e32 v30, 2, v28                                  // 0000000045DC: 263C3882
	v_lshlrev_b32_e32 v30, 2, v30                              // 0000000045E0: 243C3C82
	v_add_u32_e32 v29, v30, v29                                // 0000000045E4: 683A3B1E
	v_and_b32_e32 v30, 12, v28                                 // 0000000045E8: 263C388C
	v_lshrrev_b32_e32 v30, 1, v30                              // 0000000045EC: 203C3C81
	v_add_u32_e32 v29, v30, v29                                // 0000000045F0: 683A3B1E
	v_lshrrev_b32_e32 v28, 5, v0                               // 0000000045F4: 20380085
	v_mul_i32_i24_e32 v30, 0x80, v28                           // 0000000045F8: 0C3C38FF 00000080
	v_add_u32_e32 v29, v30, v29                                // 000000004600: 683A3B1E
	v_and_b32_e32 v30, 1, v0                                   // 000000004604: 263C0081
	v_add_u32_e32 v11, v30, v29                                // 000000004608: 68163B1E
	s_and_b32 s60, 1, s46                                      // 00000000460C: 863C2E81
	s_mul_i32 s60, s60, 64                                     // 000000004610: 923CC03C
	s_lshr_b32 s61, s46, 1                                     // 000000004614: 8F3D812E
	s_mul_i32 s61, s61, 0x220                                  // 000000004618: 923DFF3D 00000220
	s_add_u32 s60, s60, s61                                    // 000000004620: 803C3D3C
	v_add_u32_e32 v11, s60, v11                                // 000000004624: 6816163C
	v_lshlrev_b32_e32 v11, 2, v11                              // 000000004628: 24161682
	v_lshrrev_b32_e32 v28, 4, v0                               // 00000000462C: 20380084
	v_and_b32_e32 v29, 1, v28                                  // 000000004630: 263A3881
	v_lshlrev_b32_e32 v29, 4, v29                              // 000000004634: 243A3A84
	v_and_b32_e32 v30, 2, v28                                  // 000000004638: 263C3882
	v_mul_i32_i24_e32 v30, 4, v30                              // 00000000463C: 0C3C3C84
	v_add_u32_e32 v29, v30, v29                                // 000000004640: 683A3B1E
	v_and_b32_e32 v28, 15, v0                                  // 000000004644: 2638008F
	v_lshrrev_b32_e32 v30, 2, v28                              // 000000004648: 203C3882
	v_lshlrev_b32_e32 v30, 5, v30                              // 00000000464C: 243C3C85
	v_add_u32_e32 v29, v30, v29                                // 000000004650: 683A3B1E
	v_and_b32_e32 v28, 3, v0                                   // 000000004654: 26380083
	v_and_b32_e32 v30, 1, v28                                  // 000000004658: 263C3881
	v_mul_i32_i24_e32 v30, 0x108, v30                          // 00000000465C: 0C3C3CFF 00000108
	v_add_u32_e32 v29, v30, v29                                // 000000004664: 683A3B1E
	v_and_b32_e32 v30, 2, v28                                  // 000000004668: 263C3882
	v_lshlrev_b32_e32 v30, 1, v30                              // 00000000466C: 243C3C81
	v_add_u32_e32 v10, v30, v29                                // 000000004670: 68143B1E
	v_lshlrev_b32_e32 v10, 2, v10                              // 000000004674: 24141482
	s_mul_i32 s60, s46, 0x1100                                 // 000000004678: 923CFF2E 00001100
	v_add_u32_e32 v22, s60, v10                                // 000000004680: 682C143C
	v_lshrrev_b32_e32 v28, 5, v0                               // 000000004684: 20380085
	v_mul_i32_i24_e32 v13, 0x80, v28                           // 000000004688: 0C1A38FF 00000080
	v_and_b32_e32 v28, 31, v0                                  // 000000004690: 2638009F
	v_and_b32_e32 v29, 7, v28                                  // 000000004694: 263A3887
	v_and_b32_e32 v30, 1, v29                                  // 000000004698: 263C3A81
	v_lshlrev_b32_e32 v30, 2, v30                              // 00000000469C: 243C3C82
	v_add_u32_e32 v13, v30, v13                                // 0000000046A0: 681A1B1E
	v_and_b32_e32 v30, 2, v29                                  // 0000000046A4: 263C3A82
	v_lshlrev_b32_e32 v30, 3, v30                              // 0000000046A8: 243C3C83
	v_add_u32_e32 v13, v30, v13                                // 0000000046AC: 681A1B1E
	v_and_b32_e32 v30, 4, v29                                  // 0000000046B0: 263C3A84
	v_lshlrev_b32_e32 v30, 1, v30                              // 0000000046B4: 243C3C81
	v_add_u32_e32 v13, v30, v13                                // 0000000046B8: 681A1B1E
	v_lshrrev_b32_e32 v29, 3, v28                              // 0000000046BC: 203A3883
	v_and_b32_e32 v30, 1, v29                                  // 0000000046C0: 263C3A81
	v_lshlrev_b32_e32 v30, 1, v30                              // 0000000046C4: 243C3C81
	v_add_u32_e32 v13, v30, v13                                // 0000000046C8: 681A1B1E
	v_and_b32_e32 v30, 2, v29                                  // 0000000046CC: 263C3A82
	v_lshrrev_b32_e32 v30, 1, v30                              // 0000000046D0: 203C3C81
	v_add_u32_e32 v13, v30, v13                                // 0000000046D4: 681A1B1E
	s_and_b32 s60, 1, s46                                      // 0000000046D8: 863C2E81
	s_mul_i32 s60, s60, 64                                     // 0000000046DC: 923CC03C
	s_lshr_b32 s61, s46, 1                                     // 0000000046E0: 8F3D812E
	s_mul_i32 s61, s61, 0x220                                  // 0000000046E4: 923DFF3D 00000220
	s_add_u32 s60, s60, s61                                    // 0000000046EC: 803C3D3C
	v_add_u32_e32 v13, s60, v13                                // 0000000046F0: 681A1A3C
	v_lshlrev_b32_e32 v13, 2, v13                              // 0000000046F4: 241A1A82
	v_and_b32_e32 v28, 15, v0                                  // 0000000046F8: 2638008F
	v_and_b32_e32 v30, 1, v28                                  // 0000000046FC: 263C3881
	v_mul_i32_i24_e32 v12, 0x108, v30                          // 000000004700: 0C183CFF 00000108
	v_and_b32_e32 v30, 2, v28                                  // 000000004708: 263C3882
	v_lshlrev_b32_e32 v30, 1, v30                              // 00000000470C: 243C3C81
	v_add_u32_e32 v12, v30, v12                                // 000000004710: 6818191E
	v_and_b32_e32 v30, 4, v28                                  // 000000004714: 263C3884
	v_lshlrev_b32_e32 v30, 2, v30                              // 000000004718: 243C3C82
	v_add_u32_e32 v12, v30, v12                                // 00000000471C: 6818191E
	v_and_b32_e32 v30, 8, v28                                  // 000000004720: 263C3888
	v_add_u32_e32 v12, v30, v12                                // 000000004724: 6818191E
	v_lshrrev_b32_e32 v28, 4, v0                               // 000000004728: 20380084
	v_and_b32_e32 v30, 1, v28                                  // 00000000472C: 263C3881
	v_lshlrev_b32_e32 v30, 5, v30                              // 000000004730: 243C3C85
	v_add_u32_e32 v12, v30, v12                                // 000000004734: 6818191E
	v_and_b32_e32 v29, 2, v28                                  // 000000004738: 263A3882
	v_mul_i32_i24_e32 v30, 32, v29                             // 00000000473C: 0C3C3AA0
	v_mul_i32_i24_e32 v29, 0x220, v29                          // 000000004740: 0C3A3AFF 00000220
	v_add_u32_e32 v23, v29, v12                                // 000000004748: 682E191D
	v_add_u32_e32 v12, v30, v12                                // 00000000474C: 6818191E
	v_lshlrev_b32_e32 v12, 2, v12                              // 000000004750: 24181882
	v_lshlrev_b32_e32 v23, 2, v23                              // 000000004754: 242E2E82
	s_and_b32 s60, 1, s46                                      // 000000004758: 863C2E81
	s_mul_i32 s60, s60, 0x200                                  // 00000000475C: 923CFF3C 00000200
	s_lshr_b32 s61, s46, 1                                     // 000000004764: 8F3D812E
	s_mul_i32 s61, s61, 0x880                                  // 000000004768: 923DFF3D 00000880
	s_add_u32 s60, s60, s61                                    // 000000004770: 803C3D3C
	v_add_u32_e32 v23, s60, v23                                // 000000004774: 682E2E3C
	v_lshrrev_b32_e32 v28, 4, v0                               // 000000004778: 20380084
	v_mul_i32_i24_e32 v21, 4, v28                              // 00000000477C: 0C2A3884
	v_and_b32_e32 v29, 3, v0                                   // 000000004780: 263A0083
	v_add_u32_e32 v21, v29, v21                                // 000000004784: 682A2B1D
	v_lshlrev_b32_e32 v21, 2, v21                              // 000000004788: 242A2A82
	v_lshrrev_b32_e32 v28, 4, v0                               // 00000000478C: 20380084
	v_and_b32_e32 v29, 1, v28                                  // 000000004790: 263A3881
	v_mul_i32_i24_e32 v19, 0x100, v29                          // 000000004794: 0C263AFF 00000100
	v_and_b32_e32 v29, 2, v28                                  // 00000000479C: 263A3882
	v_mul_i32_i24_e32 v29, 64, v29                             // 0000000047A0: 0C3A3AC0
	v_add_u32_e32 v19, v29, v19                                // 0000000047A4: 6826271D
	v_and_b32_e32 v28, 15, v0                                  // 0000000047A8: 2638008F
	v_mul_i32_i24_e32 v29, 2, v28                              // 0000000047AC: 0C3A3882
	v_add_u32_e32 v19, v29, v19                                // 0000000047B0: 6826271D
	s_mul_i32 s60, s46, 32                                     // 0000000047B4: 923CA02E
	v_add_u32_e32 v19, s60, v19                                // 0000000047B8: 6826263C
	v_lshlrev_b32_e32 v19, 2, v19                              // 0000000047BC: 24262682
	v_lshlrev_b32_e32 v20, 1, v0                               // 0000000047C0: 24280081
	s_mul_i32 s60, s46, 0x200                                  // 0000000047C4: 923CFF2E 00000200
	v_add_u32_e32 v20, s60, v20                                // 0000000047CC: 6828283C
	v_lshlrev_b32_e32 v20, 2, v20                              // 0000000047D0: 24282882
	v_lshrrev_b32_e32 v28, 5, v0                               // 0000000047D4: 20380085
	v_mul_i32_i24_e32 v17, 64, v28                             // 0000000047D8: 0C2238C0
	v_and_b32_e32 v28, 31, v0                                  // 0000000047DC: 2638009F
	v_and_b32_e32 v28, 3, v28                                  // 0000000047E0: 26383883
	v_and_b32_e32 v29, 1, v28                                  // 0000000047E4: 263A3881
	v_mul_i32_i24_e32 v29, 4, v29                              // 0000000047E8: 0C3A3A84
	v_add_u32_e32 v17, v29, v17                                // 0000000047EC: 6822231D
	v_and_b32_e32 v29, 2, v28                                  // 0000000047F0: 263A3882
	v_mul_i32_i24_e32 v29, 0x44, v29                           // 0000000047F4: 0C3A3AFF 00000044
	v_add_u32_e32 v17, v29, v17                                // 0000000047FC: 6822231D
	v_and_b32_e32 v28, 31, v0                                  // 000000004800: 2638009F
	v_lshrrev_b32_e32 v28, 2, v28                              // 000000004804: 20383882
	v_lshrrev_b32_e32 v30, 2, v28                              // 000000004808: 203C3882
	v_mul_i32_i24_e32 v29, 16, v30                             // 00000000480C: 0C3A3C90
	v_add_u32_e32 v17, v29, v17                                // 000000004810: 6822231D
	v_and_b32_e32 v29, 2, v28                                  // 000000004814: 263A3882
	v_lshlrev_b32_e32 v29, 4, v29                              // 000000004818: 243A3A84
	v_add_u32_e32 v17, v29, v17                                // 00000000481C: 6822231D
	v_and_b32_e32 v29, 1, v28                                  // 000000004820: 263A3881
	v_xor_b32_e32 v29, v30, v29                                // 000000004824: 2A3A3B1E
	v_mul_i32_i24_e32 v29, 8, v29                              // 000000004828: 0C3A3A88
	v_add_u32_e32 v17, v29, v17                                // 00000000482C: 6822231D
	v_lshlrev_b32_e32 v17, 2, v17                              // 000000004830: 24222282
	v_lshrrev_b32_e32 v28, 5, v0                               // 000000004834: 20380085
	v_mul_i32_i24_e32 v18, 32, v28                             // 000000004838: 0C2438A0
	v_and_b32_e32 v28, 31, v0                                  // 00000000483C: 2638009F
	v_and_b32_e32 v28, 3, v28                                  // 000000004840: 26383883
	v_and_b32_e32 v29, 1, v28                                  // 000000004844: 263A3881
	v_mul_i32_i24_e32 v29, 4, v29                              // 000000004848: 0C3A3A84
	v_add_u32_e32 v18, v29, v18                                // 00000000484C: 6824251D
	v_and_b32_e32 v29, 2, v28                                  // 000000004850: 263A3882
	v_lshrrev_b32_e32 v29, 1, v29                              // 000000004854: 203A3A81
	v_add_u32_e32 v18, v29, v18                                // 000000004858: 6824251D
	v_and_b32_e32 v28, 31, v0                                  // 00000000485C: 2638009F
	v_lshrrev_b32_e32 v28, 2, v28                              // 000000004860: 20383882
	v_and_b32_e32 v30, 1, v28                                  // 000000004864: 263C3881
	v_mul_i32_i24_e32 v29, 16, v30                             // 000000004868: 0C3A3C90
	v_add_u32_e32 v18, v29, v18                                // 00000000486C: 6824251D
	v_and_b32_e32 v29, 2, v28                                  // 000000004870: 263A3882
	v_add_u32_e32 v18, v29, v18                                // 000000004874: 6824251D
	v_lshrrev_b32_e32 v29, 2, v28                              // 000000004878: 203A3882
	v_xor_b32_e32 v29, v30, v29                                // 00000000487C: 2A3A3B1E
	v_mul_i32_i24_e32 v29, 8, v29                              // 000000004880: 0C3A3A88
	v_add_u32_e32 v18, v29, v18                                // 000000004884: 6824251D
	s_and_b32 s60, 1, s46                                      // 000000004888: 863C2E81
	s_mul_i32 s60, s60, 64                                     // 00000000488C: 923CC03C
	s_lshr_b32 s61, s46, 1                                     // 000000004890: 8F3D812E
	s_mul_i32 s61, s61, 0x120                                  // 000000004894: 923DFF3D 00000120
	s_add_u32 s60, s60, s61                                    // 00000000489C: 803C3D3C
	v_add_u32_e32 v18, s60, v18                                // 0000000048A0: 6824243C
	v_lshlrev_b32_e32 v18, 2, v18                              // 0000000048A4: 24242482
	buffer_load_dword v152, v1, s[12:15], 0 idxen              // 0000000048A8: E0502000 80039801
	buffer_load_dword v153, v2, s[12:15], 0 idxen              // 0000000048B0: E0502000 80039902
	buffer_load_dword v154, v3, s[12:15], 0 idxen              // 0000000048B8: E0502000 80039A03
	buffer_load_dword v155, v4, s[12:15], 0 idxen              // 0000000048C0: E0502000 80039B04
	s_mul_i32 s60, 4, s6                                       // 0000000048C8: 923C0684
	s_cmp_lt_i32 0, s72                                        // 0000000048CC: BF044880
	s_cselect_b32 s60, s60, 0                                  // 0000000048D0: 853C803C
	v_add_u32_e32 v1, s60, v1                                  // 0000000048D4: 6802023C
	v_add_u32_e32 v2, s60, v2                                  // 0000000048D8: 6804043C
	v_add_u32_e32 v3, s60, v3                                  // 0000000048DC: 6806063C
	v_add_u32_e32 v4, s60, v4                                  // 0000000048E0: 6808083C
	buffer_load_dword v156, v1, s[12:15], 0 idxen              // 0000000048E4: E0502000 80039C01
	buffer_load_dword v157, v2, s[12:15], 0 idxen              // 0000000048EC: E0502000 80039D02
	buffer_load_dword v158, v3, s[12:15], 0 idxen              // 0000000048F4: E0502000 80039E03
	buffer_load_dword v159, v4, s[12:15], 0 idxen              // 0000000048FC: E0502000 80039F04
	s_mul_i32 s60, 4, s6                                       // 000000004904: 923C0684
	s_cmp_lt_i32 0, s72                                        // 000000004908: BF044880
	s_cselect_b32 s60, s60, 0                                  // 00000000490C: 853C803C
	v_add_u32_e32 v1, s60, v1                                  // 000000004910: 6802023C
	v_add_u32_e32 v2, s60, v2                                  // 000000004914: 6804043C
	v_add_u32_e32 v3, s60, v3                                  // 000000004918: 6806063C
	v_add_u32_e32 v4, s60, v4                                  // 00000000491C: 6808083C
	buffer_load_dword v160, v1, s[12:15], 0 idxen              // 000000004920: E0502000 8003A001
	buffer_load_dword v161, v2, s[12:15], 0 idxen              // 000000004928: E0502000 8003A102
	buffer_load_dword v162, v3, s[12:15], 0 idxen              // 000000004930: E0502000 8003A203
	buffer_load_dword v163, v4, s[12:15], 0 idxen              // 000000004938: E0502000 8003A304
	s_mul_i32 s60, 4, s6                                       // 000000004940: 923C0684
	s_cmp_lt_i32 0, s72                                        // 000000004944: BF044880
	s_cselect_b32 s60, s60, 0                                  // 000000004948: 853C803C
	v_add_u32_e32 v1, s60, v1                                  // 00000000494C: 6802023C
	v_add_u32_e32 v2, s60, v2                                  // 000000004950: 6804043C
	v_add_u32_e32 v3, s60, v3                                  // 000000004954: 6806063C
	v_add_u32_e32 v4, s60, v4                                  // 000000004958: 6808083C
	buffer_load_dword v164, v1, s[12:15], 0 idxen              // 00000000495C: E0502000 8003A401
	buffer_load_dword v165, v2, s[12:15], 0 idxen              // 000000004964: E0502000 8003A502
	buffer_load_dword v166, v3, s[12:15], 0 idxen              // 00000000496C: E0502000 8003A603
	buffer_load_dword v167, v4, s[12:15], 0 idxen              // 000000004974: E0502000 8003A704
	s_mul_i32 s60, 4, s6                                       // 00000000497C: 923C0684
	s_cmp_lt_i32 1, s72                                        // 000000004980: BF044881
	s_cselect_b32 s60, s60, 0                                  // 000000004984: 853C803C
	v_add_u32_e32 v1, s60, v1                                  // 000000004988: 6802023C
	v_add_u32_e32 v2, s60, v2                                  // 00000000498C: 6804043C
	v_add_u32_e32 v3, s60, v3                                  // 000000004990: 6806063C
	v_add_u32_e32 v4, s60, v4                                  // 000000004994: 6808083C
	buffer_load_dword v168, v1, s[12:15], 0 idxen              // 000000004998: E0502000 8003A801
	buffer_load_dword v169, v2, s[12:15], 0 idxen              // 0000000049A0: E0502000 8003A902
	buffer_load_dword v170, v3, s[12:15], 0 idxen              // 0000000049A8: E0502000 8003AA03
	buffer_load_dword v171, v4, s[12:15], 0 idxen              // 0000000049B0: E0502000 8003AB04
	s_mul_i32 s60, 4, s6                                       // 0000000049B8: 923C0684
	s_cmp_lt_i32 1, s72                                        // 0000000049BC: BF044881
	s_cselect_b32 s60, s60, 0                                  // 0000000049C0: 853C803C
	v_add_u32_e32 v1, s60, v1                                  // 0000000049C4: 6802023C
	v_add_u32_e32 v2, s60, v2                                  // 0000000049C8: 6804043C
	v_add_u32_e32 v3, s60, v3                                  // 0000000049CC: 6806063C
	v_add_u32_e32 v4, s60, v4                                  // 0000000049D0: 6808083C
	buffer_load_dword v172, v1, s[12:15], 0 idxen              // 0000000049D4: E0502000 8003AC01
	buffer_load_dword v173, v2, s[12:15], 0 idxen              // 0000000049DC: E0502000 8003AD02
	buffer_load_dword v174, v3, s[12:15], 0 idxen              // 0000000049E4: E0502000 8003AE03
	buffer_load_dword v175, v4, s[12:15], 0 idxen              // 0000000049EC: E0502000 8003AF04
	s_mul_i32 s60, 4, s6                                       // 0000000049F4: 923C0684
	s_cmp_lt_i32 1, s72                                        // 0000000049F8: BF044881
	s_cselect_b32 s60, s60, 0                                  // 0000000049FC: 853C803C
	v_add_u32_e32 v1, s60, v1                                  // 000000004A00: 6802023C
	v_add_u32_e32 v2, s60, v2                                  // 000000004A04: 6804043C
	v_add_u32_e32 v3, s60, v3                                  // 000000004A08: 6806063C
	v_add_u32_e32 v4, s60, v4                                  // 000000004A0C: 6808083C
	buffer_load_dword v176, v1, s[12:15], 0 idxen              // 000000004A10: E0502000 8003B001
	buffer_load_dword v177, v2, s[12:15], 0 idxen              // 000000004A18: E0502000 8003B102
	buffer_load_dword v178, v3, s[12:15], 0 idxen              // 000000004A20: E0502000 8003B203
	buffer_load_dword v179, v4, s[12:15], 0 idxen              // 000000004A28: E0502000 8003B304
	s_mul_i32 s60, 4, s6                                       // 000000004A30: 923C0684
	s_cmp_lt_i32 1, s72                                        // 000000004A34: BF044881
	s_cselect_b32 s60, s60, 0                                  // 000000004A38: 853C803C
	v_add_u32_e32 v1, s60, v1                                  // 000000004A3C: 6802023C
	v_add_u32_e32 v2, s60, v2                                  // 000000004A40: 6804043C
	v_add_u32_e32 v3, s60, v3                                  // 000000004A44: 6806063C
	v_add_u32_e32 v4, s60, v4                                  // 000000004A48: 6808083C
	buffer_load_dword v180, v1, s[12:15], 0 idxen              // 000000004A4C: E0502000 8003B401
	buffer_load_dword v181, v2, s[12:15], 0 idxen              // 000000004A54: E0502000 8003B502
	buffer_load_dword v182, v3, s[12:15], 0 idxen              // 000000004A5C: E0502000 8003B603
	buffer_load_dword v183, v4, s[12:15], 0 idxen              // 000000004A64: E0502000 8003B704
	s_mul_i32 s60, 4, s6                                       // 000000004A6C: 923C0684
	s_cmp_lt_i32 2, s72                                        // 000000004A70: BF044882
	s_cselect_b32 s60, s60, 0                                  // 000000004A74: 853C803C
	v_add_u32_e32 v1, s60, v1                                  // 000000004A78: 6802023C
	v_add_u32_e32 v2, s60, v2                                  // 000000004A7C: 6804043C
	v_add_u32_e32 v3, s60, v3                                  // 000000004A80: 6806063C
	v_add_u32_e32 v4, s60, v4                                  // 000000004A84: 6808083C
	buffer_load_dword v184, v1, s[12:15], 0 idxen              // 000000004A88: E0502000 8003B801
	buffer_load_dword v185, v2, s[12:15], 0 idxen              // 000000004A90: E0502000 8003B902
	buffer_load_dword v186, v3, s[12:15], 0 idxen              // 000000004A98: E0502000 8003BA03
	buffer_load_dword v187, v4, s[12:15], 0 idxen              // 000000004AA0: E0502000 8003BB04
	s_mul_i32 s60, 4, s6                                       // 000000004AA8: 923C0684
	s_cmp_lt_i32 2, s72                                        // 000000004AAC: BF044882
	s_cselect_b32 s60, s60, 0                                  // 000000004AB0: 853C803C
	v_add_u32_e32 v1, s60, v1                                  // 000000004AB4: 6802023C
	v_add_u32_e32 v2, s60, v2                                  // 000000004AB8: 6804043C
	v_add_u32_e32 v3, s60, v3                                  // 000000004ABC: 6806063C
	v_add_u32_e32 v4, s60, v4                                  // 000000004AC0: 6808083C
	buffer_load_dword v188, v1, s[12:15], 0 idxen              // 000000004AC4: E0502000 8003BC01
	buffer_load_dword v189, v2, s[12:15], 0 idxen              // 000000004ACC: E0502000 8003BD02
	buffer_load_dword v190, v3, s[12:15], 0 idxen              // 000000004AD4: E0502000 8003BE03
	buffer_load_dword v191, v4, s[12:15], 0 idxen              // 000000004ADC: E0502000 8003BF04
	s_mul_i32 s60, 4, s6                                       // 000000004AE4: 923C0684
	s_cmp_lt_i32 2, s72                                        // 000000004AE8: BF044882
	s_cselect_b32 s60, s60, 0                                  // 000000004AEC: 853C803C
	v_add_u32_e32 v1, s60, v1                                  // 000000004AF0: 6802023C
	v_add_u32_e32 v2, s60, v2                                  // 000000004AF4: 6804043C
	v_add_u32_e32 v3, s60, v3                                  // 000000004AF8: 6806063C
	v_add_u32_e32 v4, s60, v4                                  // 000000004AFC: 6808083C
	buffer_load_dword v192, v1, s[12:15], 0 idxen              // 000000004B00: E0502000 8003C001
	buffer_load_dword v193, v2, s[12:15], 0 idxen              // 000000004B08: E0502000 8003C102
	buffer_load_dword v194, v3, s[12:15], 0 idxen              // 000000004B10: E0502000 8003C203
	buffer_load_dword v195, v4, s[12:15], 0 idxen              // 000000004B18: E0502000 8003C304
	s_mul_i32 s60, 4, s6                                       // 000000004B20: 923C0684
	s_cmp_lt_i32 2, s72                                        // 000000004B24: BF044882
	s_cselect_b32 s60, s60, 0                                  // 000000004B28: 853C803C
	v_add_u32_e32 v1, s60, v1                                  // 000000004B2C: 6802023C
	v_add_u32_e32 v2, s60, v2                                  // 000000004B30: 6804043C
	v_add_u32_e32 v3, s60, v3                                  // 000000004B34: 6806063C
	v_add_u32_e32 v4, s60, v4                                  // 000000004B38: 6808083C
	buffer_load_dword v196, v1, s[12:15], 0 idxen              // 000000004B3C: E0502000 8003C401
	buffer_load_dword v197, v2, s[12:15], 0 idxen              // 000000004B44: E0502000 8003C502
	buffer_load_dword v198, v3, s[12:15], 0 idxen              // 000000004B4C: E0502000 8003C603
	buffer_load_dword v199, v4, s[12:15], 0 idxen              // 000000004B54: E0502000 8003C704
	s_mul_i32 s60, 4, s6                                       // 000000004B5C: 923C0684
	s_cmp_lt_i32 3, s72                                        // 000000004B60: BF044883
	s_cselect_b32 s60, s60, 0                                  // 000000004B64: 853C803C
	v_add_u32_e32 v1, s60, v1                                  // 000000004B68: 6802023C
	v_add_u32_e32 v2, s60, v2                                  // 000000004B6C: 6804043C
	v_add_u32_e32 v3, s60, v3                                  // 000000004B70: 6806063C
	v_add_u32_e32 v4, s60, v4                                  // 000000004B74: 6808083C
	s_waitcnt vmcnt(32) lgkmcnt(0)                             // 000000004B78: BF8C8070
	s_barrier                                                  // 000000004B7C: BF8A0000
	s_cmp_lt_i32 0, s72                                        // 000000004B80: BF044880
	s_cbranch_scc1 label_0372                                  // 000000004B84: BF850010
	v_mov_b32_e32 v152, 0                                      // 000000004B88: 7F300280
	v_mov_b32_e32 v153, 0                                      // 000000004B8C: 7F320280
	v_mov_b32_e32 v154, 0                                      // 000000004B90: 7F340280
	v_mov_b32_e32 v155, 0                                      // 000000004B94: 7F360280
	v_mov_b32_e32 v156, 0                                      // 000000004B98: 7F380280
	v_mov_b32_e32 v157, 0                                      // 000000004B9C: 7F3A0280
	v_mov_b32_e32 v158, 0                                      // 000000004BA0: 7F3C0280
	v_mov_b32_e32 v159, 0                                      // 000000004BA4: 7F3E0280
	v_mov_b32_e32 v160, 0                                      // 000000004BA8: 7F400280
	v_mov_b32_e32 v161, 0                                      // 000000004BAC: 7F420280
	v_mov_b32_e32 v162, 0                                      // 000000004BB0: 7F440280
	v_mov_b32_e32 v163, 0                                      // 000000004BB4: 7F460280
	v_mov_b32_e32 v164, 0                                      // 000000004BB8: 7F480280
	v_mov_b32_e32 v165, 0                                      // 000000004BBC: 7F4A0280
	v_mov_b32_e32 v166, 0                                      // 000000004BC0: 7F4C0280
	v_mov_b32_e32 v167, 0                                      // 000000004BC4: 7F4E0280

0000000000004bc8 <label_0372>:
	v_perm_b32 v200, v153, v152, s63                           // 000000004BC8: D1ED00C8 00FF3199
	v_perm_b32 v201, v153, v152, s64                           // 000000004BD0: D1ED00C9 01033199
	v_perm_b32 v202, v155, v154, s63                           // 000000004BD8: D1ED00CA 00FF359B
	v_perm_b32 v203, v155, v154, s64                           // 000000004BE0: D1ED00CB 0103359B
	v_perm_b32 v204, v157, v156, s63                           // 000000004BE8: D1ED00CC 00FF399D
	v_perm_b32 v205, v157, v156, s64                           // 000000004BF0: D1ED00CD 0103399D
	v_perm_b32 v206, v159, v158, s63                           // 000000004BF8: D1ED00CE 00FF3D9F
	v_perm_b32 v207, v159, v158, s64                           // 000000004C00: D1ED00CF 01033D9F
	v_perm_b32 v208, v161, v160, s63                           // 000000004C08: D1ED00D0 00FF41A1
	v_perm_b32 v209, v161, v160, s64                           // 000000004C10: D1ED00D1 010341A1
	v_perm_b32 v210, v163, v162, s63                           // 000000004C18: D1ED00D2 00FF45A3
	v_perm_b32 v211, v163, v162, s64                           // 000000004C20: D1ED00D3 010345A3
	v_perm_b32 v212, v165, v164, s63                           // 000000004C28: D1ED00D4 00FF49A5
	v_perm_b32 v213, v165, v164, s64                           // 000000004C30: D1ED00D5 010349A5
	v_perm_b32 v214, v167, v166, s63                           // 000000004C38: D1ED00D6 00FF4DA7
	v_perm_b32 v215, v167, v166, s64                           // 000000004C40: D1ED00D7 01034DA7
	ds_write_b32 v13, v200 offset:17408                        // 000000004C48: D81A4400 0000C80D
	ds_write_b32 v13, v201 offset:18464                        // 000000004C50: D81A4820 0000C90D
	ds_write_b32 v13, v202 offset:17536                        // 000000004C58: D81A4480 0000CA0D
	ds_write_b32 v13, v203 offset:18592                        // 000000004C60: D81A48A0 0000CB0D
	ds_write_b32 v13, v204 offset:21760                        // 000000004C68: D81A5500 0000CC0D
	ds_write_b32 v13, v205 offset:22816                        // 000000004C70: D81A5920 0000CD0D
	ds_write_b32 v13, v206 offset:21888                        // 000000004C78: D81A5580 0000CE0D
	ds_write_b32 v13, v207 offset:22944                        // 000000004C80: D81A59A0 0000CF0D
	ds_write_b32 v13, v208 offset:26112                        // 000000004C88: D81A6600 0000D00D
	ds_write_b32 v13, v209 offset:27168                        // 000000004C90: D81A6A20 0000D10D
	ds_write_b32 v13, v210 offset:26240                        // 000000004C98: D81A6680 0000D20D
	ds_write_b32 v13, v211 offset:27296                        // 000000004CA0: D81A6AA0 0000D30D
	ds_write_b32 v13, v212 offset:30464                        // 000000004CA8: D81A7700 0000D40D
	ds_write_b32 v13, v213 offset:31520                        // 000000004CB0: D81A7B20 0000D50D
	ds_write_b32 v13, v214 offset:30592                        // 000000004CB8: D81A7780 0000D60D
	ds_write_b32 v13, v215 offset:31648                        // 000000004CC0: D81A7BA0 0000D70D
	ds_write_b32 v11, v152                                     // 000000004CC8: D81A0000 0000980B
	ds_write_b32 v11, v153 offset:1056                         // 000000004CD0: D81A0420 0000990B
	ds_write_b32 v11, v154 offset:128                          // 000000004CD8: D81A0080 00009A0B
	ds_write_b32 v11, v155 offset:1184                         // 000000004CE0: D81A04A0 00009B0B
	ds_write_b32 v11, v156 offset:4352                         // 000000004CE8: D81A1100 00009C0B
	ds_write_b32 v11, v157 offset:5408                         // 000000004CF0: D81A1520 00009D0B
	ds_write_b32 v11, v158 offset:4480                         // 000000004CF8: D81A1180 00009E0B
	ds_write_b32 v11, v159 offset:5536                         // 000000004D00: D81A15A0 00009F0B
	ds_write_b32 v11, v160 offset:8704                         // 000000004D08: D81A2200 0000A00B
	ds_write_b32 v11, v161 offset:9760                         // 000000004D10: D81A2620 0000A10B
	ds_write_b32 v11, v162 offset:8832                         // 000000004D18: D81A2280 0000A20B
	ds_write_b32 v11, v163 offset:9888                         // 000000004D20: D81A26A0 0000A30B
	ds_write_b32 v11, v164 offset:13056                        // 000000004D28: D81A3300 0000A40B
	ds_write_b32 v11, v165 offset:14112                        // 000000004D30: D81A3720 0000A50B
	ds_write_b32 v11, v166 offset:13184                        // 000000004D38: D81A3380 0000A60B
	ds_write_b32 v11, v167 offset:14240                        // 000000004D40: D81A37A0 0000A70B
	buffer_load_dword v152, v248, s[16:19], 0 idxen            // 000000004D48: E0502000 800498F8
	buffer_load_dword v153, v249, s[16:19], 0 idxen            // 000000004D50: E0502000 800499F9
	buffer_load_dword v154, v250, s[16:19], 0 idxen            // 000000004D58: E0502000 80049AFA
	buffer_load_dword v155, v251, s[16:19], 0 idxen            // 000000004D60: E0502000 80049BFB
	s_mul_i32 s60, 4, s7                                       // 000000004D68: 923C0784
	s_cmp_lt_i32 0, s72                                        // 000000004D6C: BF044880
	s_cselect_b32 s60, s60, 0                                  // 000000004D70: 853C803C
	v_add_u32_e32 v248, s60, v248                              // 000000004D74: 69F1F03C
	v_add_u32_e32 v249, s60, v249                              // 000000004D78: 69F3F23C
	v_add_u32_e32 v250, s60, v250                              // 000000004D7C: 69F5F43C
	v_add_u32_e32 v251, s60, v251                              // 000000004D80: 69F7F63C
	buffer_load_dword v156, v248, s[16:19], 0 idxen            // 000000004D84: E0502000 80049CF8
	buffer_load_dword v157, v249, s[16:19], 0 idxen            // 000000004D8C: E0502000 80049DF9
	buffer_load_dword v158, v250, s[16:19], 0 idxen            // 000000004D94: E0502000 80049EFA
	buffer_load_dword v159, v251, s[16:19], 0 idxen            // 000000004D9C: E0502000 80049FFB
	s_mul_i32 s60, 4, s7                                       // 000000004DA4: 923C0784
	s_cmp_lt_i32 0, s72                                        // 000000004DA8: BF044880
	s_cselect_b32 s60, s60, 0                                  // 000000004DAC: 853C803C
	v_add_u32_e32 v248, s60, v248                              // 000000004DB0: 69F1F03C
	v_add_u32_e32 v249, s60, v249                              // 000000004DB4: 69F3F23C
	v_add_u32_e32 v250, s60, v250                              // 000000004DB8: 69F5F43C
	v_add_u32_e32 v251, s60, v251                              // 000000004DBC: 69F7F63C
	buffer_load_dword v160, v248, s[16:19], 0 idxen            // 000000004DC0: E0502000 8004A0F8
	buffer_load_dword v161, v249, s[16:19], 0 idxen            // 000000004DC8: E0502000 8004A1F9
	buffer_load_dword v162, v250, s[16:19], 0 idxen            // 000000004DD0: E0502000 8004A2FA
	buffer_load_dword v163, v251, s[16:19], 0 idxen            // 000000004DD8: E0502000 8004A3FB
	s_mul_i32 s60, 4, s7                                       // 000000004DE0: 923C0784
	s_cmp_lt_i32 0, s72                                        // 000000004DE4: BF044880
	s_cselect_b32 s60, s60, 0                                  // 000000004DE8: 853C803C
	v_add_u32_e32 v248, s60, v248                              // 000000004DEC: 69F1F03C
	v_add_u32_e32 v249, s60, v249                              // 000000004DF0: 69F3F23C
	v_add_u32_e32 v250, s60, v250                              // 000000004DF4: 69F5F43C
	v_add_u32_e32 v251, s60, v251                              // 000000004DF8: 69F7F63C
	buffer_load_dword v164, v248, s[16:19], 0 idxen            // 000000004DFC: E0502000 8004A4F8
	buffer_load_dword v165, v249, s[16:19], 0 idxen            // 000000004E04: E0502000 8004A5F9
	buffer_load_dword v166, v250, s[16:19], 0 idxen            // 000000004E0C: E0502000 8004A6FA
	buffer_load_dword v167, v251, s[16:19], 0 idxen            // 000000004E14: E0502000 8004A7FB
	s_mul_i32 s60, 4, s7                                       // 000000004E1C: 923C0784
	s_cmp_lt_i32 1, s72                                        // 000000004E20: BF044881
	s_cselect_b32 s60, s60, 0                                  // 000000004E24: 853C803C
	v_add_u32_e32 v248, s60, v248                              // 000000004E28: 69F1F03C
	v_add_u32_e32 v249, s60, v249                              // 000000004E2C: 69F3F23C
	v_add_u32_e32 v250, s60, v250                              // 000000004E30: 69F5F43C
	v_add_u32_e32 v251, s60, v251                              // 000000004E34: 69F7F63C
	s_waitcnt lgkmcnt(0)                                       // 000000004E38: BF8CC07F
	s_barrier                                                  // 000000004E3C: BF8A0000
	ds_read_b128 a[48:51], v23 offset:17408                    // 000000004E40: DBFE4400 30000017
	ds_read_b128 a[52:55], v23 offset:17664                    // 000000004E48: DBFE4500 34000017
	ds_read_b128 a[56:59], v23 offset:26112                    // 000000004E50: DBFE6600 38000017
	ds_read_b128 a[60:63], v23 offset:26368                    // 000000004E58: DBFE6700 3C000017
	ds_read_b128 a[0:3], v22                                   // 000000004E60: DBFE0000 00000016
	ds_read_b128 a[4:7], v22 offset:512                        // 000000004E68: DBFE0200 04000016
	ds_read_b128 a[8:11], v22 offset:2176                      // 000000004E70: DBFE0880 08000016
	ds_read_b128 a[12:15], v22 offset:2688                     // 000000004E78: DBFE0A80 0C000016
	s_waitcnt vmcnt(32) lgkmcnt(0)                             // 000000004E80: BF8C8070
	s_barrier                                                  // 000000004E84: BF8A0000
	s_cmp_lt_i32 1, s72                                        // 000000004E88: BF044881
	s_cbranch_scc1 label_0434                                  // 000000004E8C: BF850010
	v_mov_b32_e32 v168, 0                                      // 000000004E90: 7F500280
	v_mov_b32_e32 v169, 0                                      // 000000004E94: 7F520280
	v_mov_b32_e32 v170, 0                                      // 000000004E98: 7F540280
	v_mov_b32_e32 v171, 0                                      // 000000004E9C: 7F560280
	v_mov_b32_e32 v172, 0                                      // 000000004EA0: 7F580280
	v_mov_b32_e32 v173, 0                                      // 000000004EA4: 7F5A0280
	v_mov_b32_e32 v174, 0                                      // 000000004EA8: 7F5C0280
	v_mov_b32_e32 v175, 0                                      // 000000004EAC: 7F5E0280
	v_mov_b32_e32 v176, 0                                      // 000000004EB0: 7F600280
	v_mov_b32_e32 v177, 0                                      // 000000004EB4: 7F620280
	v_mov_b32_e32 v178, 0                                      // 000000004EB8: 7F640280
	v_mov_b32_e32 v179, 0                                      // 000000004EBC: 7F660280
	v_mov_b32_e32 v180, 0                                      // 000000004EC0: 7F680280
	v_mov_b32_e32 v181, 0                                      // 000000004EC4: 7F6A0280
	v_mov_b32_e32 v182, 0                                      // 000000004EC8: 7F6C0280
	v_mov_b32_e32 v183, 0                                      // 000000004ECC: 7F6E0280

0000000000004ed0 <label_0434>:
	v_perm_b32 v200, v169, v168, s63                           // 000000004ED0: D1ED00C8 00FF51A9
	v_perm_b32 v201, v169, v168, s64                           // 000000004ED8: D1ED00C9 010351A9
	v_perm_b32 v202, v171, v170, s63                           // 000000004EE0: D1ED00CA 00FF55AB
	v_perm_b32 v203, v171, v170, s64                           // 000000004EE8: D1ED00CB 010355AB
	v_perm_b32 v204, v173, v172, s63                           // 000000004EF0: D1ED00CC 00FF59AD
	v_perm_b32 v205, v173, v172, s64                           // 000000004EF8: D1ED00CD 010359AD
	v_perm_b32 v206, v175, v174, s63                           // 000000004F00: D1ED00CE 00FF5DAF
	v_perm_b32 v207, v175, v174, s64                           // 000000004F08: D1ED00CF 01035DAF
	v_perm_b32 v208, v177, v176, s63                           // 000000004F10: D1ED00D0 00FF61B1
	v_perm_b32 v209, v177, v176, s64                           // 000000004F18: D1ED00D1 010361B1
	v_perm_b32 v210, v179, v178, s63                           // 000000004F20: D1ED00D2 00FF65B3
	v_perm_b32 v211, v179, v178, s64                           // 000000004F28: D1ED00D3 010365B3
	v_perm_b32 v212, v181, v180, s63                           // 000000004F30: D1ED00D4 00FF69B5
	v_perm_b32 v213, v181, v180, s64                           // 000000004F38: D1ED00D5 010369B5
	v_perm_b32 v214, v183, v182, s63                           // 000000004F40: D1ED00D6 00FF6DB7
	v_perm_b32 v215, v183, v182, s64                           // 000000004F48: D1ED00D7 01036DB7
	ds_write_b32 v13, v200 offset:17408                        // 000000004F50: D81A4400 0000C80D
	ds_write_b32 v13, v201 offset:18464                        // 000000004F58: D81A4820 0000C90D
	ds_write_b32 v13, v202 offset:17536                        // 000000004F60: D81A4480 0000CA0D
	ds_write_b32 v13, v203 offset:18592                        // 000000004F68: D81A48A0 0000CB0D
	ds_write_b32 v13, v204 offset:21760                        // 000000004F70: D81A5500 0000CC0D
	ds_write_b32 v13, v205 offset:22816                        // 000000004F78: D81A5920 0000CD0D
	ds_write_b32 v13, v206 offset:21888                        // 000000004F80: D81A5580 0000CE0D
	ds_write_b32 v13, v207 offset:22944                        // 000000004F88: D81A59A0 0000CF0D
	ds_write_b32 v13, v208 offset:26112                        // 000000004F90: D81A6600 0000D00D
	ds_write_b32 v13, v209 offset:27168                        // 000000004F98: D81A6A20 0000D10D
	ds_write_b32 v13, v210 offset:26240                        // 000000004FA0: D81A6680 0000D20D
	ds_write_b32 v13, v211 offset:27296                        // 000000004FA8: D81A6AA0 0000D30D
	ds_write_b32 v13, v212 offset:30464                        // 000000004FB0: D81A7700 0000D40D
	ds_write_b32 v13, v213 offset:31520                        // 000000004FB8: D81A7B20 0000D50D
	ds_write_b32 v13, v214 offset:30592                        // 000000004FC0: D81A7780 0000D60D
	ds_write_b32 v13, v215 offset:31648                        // 000000004FC8: D81A7BA0 0000D70D
	ds_write_b32 v11, v168                                     // 000000004FD0: D81A0000 0000A80B
	ds_write_b32 v11, v169 offset:1056                         // 000000004FD8: D81A0420 0000A90B
	ds_write_b32 v11, v170 offset:128                          // 000000004FE0: D81A0080 0000AA0B
	ds_write_b32 v11, v171 offset:1184                         // 000000004FE8: D81A04A0 0000AB0B
	ds_write_b32 v11, v172 offset:4352                         // 000000004FF0: D81A1100 0000AC0B
	ds_write_b32 v11, v173 offset:5408                         // 000000004FF8: D81A1520 0000AD0B
	ds_write_b32 v11, v174 offset:4480                         // 000000005000: D81A1180 0000AE0B
	ds_write_b32 v11, v175 offset:5536                         // 000000005008: D81A15A0 0000AF0B
	ds_write_b32 v11, v176 offset:8704                         // 000000005010: D81A2200 0000B00B
	ds_write_b32 v11, v177 offset:9760                         // 000000005018: D81A2620 0000B10B
	ds_write_b32 v11, v178 offset:8832                         // 000000005020: D81A2280 0000B20B
	ds_write_b32 v11, v179 offset:9888                         // 000000005028: D81A26A0 0000B30B
	ds_write_b32 v11, v180 offset:13056                        // 000000005030: D81A3300 0000B40B
	ds_write_b32 v11, v181 offset:14112                        // 000000005038: D81A3720 0000B50B
	ds_write_b32 v11, v182 offset:13184                        // 000000005040: D81A3380 0000B60B
	ds_write_b32 v11, v183 offset:14240                        // 000000005048: D81A37A0 0000B70B
	buffer_load_dword v168, v248, s[16:19], 0 idxen            // 000000005050: E0502000 8004A8F8
	buffer_load_dword v169, v249, s[16:19], 0 idxen            // 000000005058: E0502000 8004A9F9
	buffer_load_dword v170, v250, s[16:19], 0 idxen            // 000000005060: E0502000 8004AAFA
	buffer_load_dword v171, v251, s[16:19], 0 idxen            // 000000005068: E0502000 8004ABFB
	s_mul_i32 s60, 4, s7                                       // 000000005070: 923C0784
	s_cmp_lt_i32 1, s72                                        // 000000005074: BF044881
	s_cselect_b32 s60, s60, 0                                  // 000000005078: 853C803C
	v_add_u32_e32 v248, s60, v248                              // 00000000507C: 69F1F03C
	v_add_u32_e32 v249, s60, v249                              // 000000005080: 69F3F23C
	v_add_u32_e32 v250, s60, v250                              // 000000005084: 69F5F43C
	v_add_u32_e32 v251, s60, v251                              // 000000005088: 69F7F63C
	buffer_load_dword v172, v248, s[16:19], 0 idxen            // 00000000508C: E0502000 8004ACF8
	buffer_load_dword v173, v249, s[16:19], 0 idxen            // 000000005094: E0502000 8004ADF9
	buffer_load_dword v174, v250, s[16:19], 0 idxen            // 00000000509C: E0502000 8004AEFA
	buffer_load_dword v175, v251, s[16:19], 0 idxen            // 0000000050A4: E0502000 8004AFFB
	s_mul_i32 s60, 4, s7                                       // 0000000050AC: 923C0784
	s_cmp_lt_i32 1, s72                                        // 0000000050B0: BF044881
	s_cselect_b32 s60, s60, 0                                  // 0000000050B4: 853C803C
	v_add_u32_e32 v248, s60, v248                              // 0000000050B8: 69F1F03C
	v_add_u32_e32 v249, s60, v249                              // 0000000050BC: 69F3F23C
	v_add_u32_e32 v250, s60, v250                              // 0000000050C0: 69F5F43C
	v_add_u32_e32 v251, s60, v251                              // 0000000050C4: 69F7F63C
	buffer_load_dword v176, v248, s[16:19], 0 idxen            // 0000000050C8: E0502000 8004B0F8
	buffer_load_dword v177, v249, s[16:19], 0 idxen            // 0000000050D0: E0502000 8004B1F9
	buffer_load_dword v178, v250, s[16:19], 0 idxen            // 0000000050D8: E0502000 8004B2FA
	buffer_load_dword v179, v251, s[16:19], 0 idxen            // 0000000050E0: E0502000 8004B3FB
	s_mul_i32 s60, 4, s7                                       // 0000000050E8: 923C0784
	s_cmp_lt_i32 1, s72                                        // 0000000050EC: BF044881
	s_cselect_b32 s60, s60, 0                                  // 0000000050F0: 853C803C
	v_add_u32_e32 v248, s60, v248                              // 0000000050F4: 69F1F03C
	v_add_u32_e32 v249, s60, v249                              // 0000000050F8: 69F3F23C
	v_add_u32_e32 v250, s60, v250                              // 0000000050FC: 69F5F43C
	v_add_u32_e32 v251, s60, v251                              // 000000005100: 69F7F63C
	buffer_load_dword v180, v248, s[16:19], 0 idxen            // 000000005104: E0502000 8004B4F8
	buffer_load_dword v181, v249, s[16:19], 0 idxen            // 00000000510C: E0502000 8004B5F9
	buffer_load_dword v182, v250, s[16:19], 0 idxen            // 000000005114: E0502000 8004B6FA
	buffer_load_dword v183, v251, s[16:19], 0 idxen            // 00000000511C: E0502000 8004B7FB
	s_mul_i32 s60, 4, s7                                       // 000000005124: 923C0784
	s_cmp_lt_i32 2, s72                                        // 000000005128: BF044882
	s_cselect_b32 s60, s60, 0                                  // 00000000512C: 853C803C
	v_add_u32_e32 v248, s60, v248                              // 000000005130: 69F1F03C
	v_add_u32_e32 v249, s60, v249                              // 000000005134: 69F3F23C
	v_add_u32_e32 v250, s60, v250                              // 000000005138: 69F5F43C
	v_add_u32_e32 v251, s60, v251                              // 00000000513C: 69F7F63C
	s_waitcnt lgkmcnt(0)                                       // 000000005140: BF8CC07F
	s_barrier                                                  // 000000005144: BF8A0000
	ds_read_b128 a[64:67], v23 offset:17408                    // 000000005148: DBFE4400 40000017
	ds_read_b128 a[68:71], v23 offset:17664                    // 000000005150: DBFE4500 44000017
	ds_read_b128 a[72:75], v23 offset:26112                    // 000000005158: DBFE6600 48000017
	ds_read_b128 a[76:79], v23 offset:26368                    // 000000005160: DBFE6700 4C000017
	ds_read_b128 a[16:19], v22                                 // 000000005168: DBFE0000 10000016
	ds_read_b128 a[20:23], v22 offset:512                      // 000000005170: DBFE0200 14000016
	ds_read_b128 a[24:27], v22 offset:2176                     // 000000005178: DBFE0880 18000016
	ds_read_b128 a[28:31], v22 offset:2688                     // 000000005180: DBFE0A80 1C000016
	s_waitcnt vmcnt(32) lgkmcnt(0)                             // 000000005188: BF8C8070
	s_barrier                                                  // 00000000518C: BF8A0000
	s_cmp_lt_i32 2, s72                                        // 000000005190: BF044882
	s_cbranch_scc1 label_04F6                                  // 000000005194: BF850010
	v_mov_b32_e32 v184, 0                                      // 000000005198: 7F700280
	v_mov_b32_e32 v185, 0                                      // 00000000519C: 7F720280
	v_mov_b32_e32 v186, 0                                      // 0000000051A0: 7F740280
	v_mov_b32_e32 v187, 0                                      // 0000000051A4: 7F760280
	v_mov_b32_e32 v188, 0                                      // 0000000051A8: 7F780280
	v_mov_b32_e32 v189, 0                                      // 0000000051AC: 7F7A0280
	v_mov_b32_e32 v190, 0                                      // 0000000051B0: 7F7C0280
	v_mov_b32_e32 v191, 0                                      // 0000000051B4: 7F7E0280
	v_mov_b32_e32 v192, 0                                      // 0000000051B8: 7F800280
	v_mov_b32_e32 v193, 0                                      // 0000000051BC: 7F820280
	v_mov_b32_e32 v194, 0                                      // 0000000051C0: 7F840280
	v_mov_b32_e32 v195, 0                                      // 0000000051C4: 7F860280
	v_mov_b32_e32 v196, 0                                      // 0000000051C8: 7F880280
	v_mov_b32_e32 v197, 0                                      // 0000000051CC: 7F8A0280
	v_mov_b32_e32 v198, 0                                      // 0000000051D0: 7F8C0280
	v_mov_b32_e32 v199, 0                                      // 0000000051D4: 7F8E0280

00000000000051d8 <label_04F6>:
	v_perm_b32 v200, v185, v184, s63                           // 0000000051D8: D1ED00C8 00FF71B9
	v_perm_b32 v201, v185, v184, s64                           // 0000000051E0: D1ED00C9 010371B9
	v_perm_b32 v202, v187, v186, s63                           // 0000000051E8: D1ED00CA 00FF75BB
	v_perm_b32 v203, v187, v186, s64                           // 0000000051F0: D1ED00CB 010375BB
	v_perm_b32 v204, v189, v188, s63                           // 0000000051F8: D1ED00CC 00FF79BD
	v_perm_b32 v205, v189, v188, s64                           // 000000005200: D1ED00CD 010379BD
	v_perm_b32 v206, v191, v190, s63                           // 000000005208: D1ED00CE 00FF7DBF
	v_perm_b32 v207, v191, v190, s64                           // 000000005210: D1ED00CF 01037DBF
	v_perm_b32 v208, v193, v192, s63                           // 000000005218: D1ED00D0 00FF81C1
	v_perm_b32 v209, v193, v192, s64                           // 000000005220: D1ED00D1 010381C1
	v_perm_b32 v210, v195, v194, s63                           // 000000005228: D1ED00D2 00FF85C3
	v_perm_b32 v211, v195, v194, s64                           // 000000005230: D1ED00D3 010385C3
	v_perm_b32 v212, v197, v196, s63                           // 000000005238: D1ED00D4 00FF89C5
	v_perm_b32 v213, v197, v196, s64                           // 000000005240: D1ED00D5 010389C5
	v_perm_b32 v214, v199, v198, s63                           // 000000005248: D1ED00D6 00FF8DC7
	v_perm_b32 v215, v199, v198, s64                           // 000000005250: D1ED00D7 01038DC7
	ds_write_b32 v13, v200 offset:17408                        // 000000005258: D81A4400 0000C80D
	ds_write_b32 v13, v201 offset:18464                        // 000000005260: D81A4820 0000C90D
	ds_write_b32 v13, v202 offset:17536                        // 000000005268: D81A4480 0000CA0D
	ds_write_b32 v13, v203 offset:18592                        // 000000005270: D81A48A0 0000CB0D
	ds_write_b32 v13, v204 offset:21760                        // 000000005278: D81A5500 0000CC0D
	ds_write_b32 v13, v205 offset:22816                        // 000000005280: D81A5920 0000CD0D
	ds_write_b32 v13, v206 offset:21888                        // 000000005288: D81A5580 0000CE0D
	ds_write_b32 v13, v207 offset:22944                        // 000000005290: D81A59A0 0000CF0D
	ds_write_b32 v13, v208 offset:26112                        // 000000005298: D81A6600 0000D00D
	ds_write_b32 v13, v209 offset:27168                        // 0000000052A0: D81A6A20 0000D10D
	ds_write_b32 v13, v210 offset:26240                        // 0000000052A8: D81A6680 0000D20D
	ds_write_b32 v13, v211 offset:27296                        // 0000000052B0: D81A6AA0 0000D30D
	ds_write_b32 v13, v212 offset:30464                        // 0000000052B8: D81A7700 0000D40D
	ds_write_b32 v13, v213 offset:31520                        // 0000000052C0: D81A7B20 0000D50D
	ds_write_b32 v13, v214 offset:30592                        // 0000000052C8: D81A7780 0000D60D
	ds_write_b32 v13, v215 offset:31648                        // 0000000052D0: D81A7BA0 0000D70D
	ds_write_b32 v11, v184                                     // 0000000052D8: D81A0000 0000B80B
	ds_write_b32 v11, v185 offset:1056                         // 0000000052E0: D81A0420 0000B90B
	ds_write_b32 v11, v186 offset:128                          // 0000000052E8: D81A0080 0000BA0B
	ds_write_b32 v11, v187 offset:1184                         // 0000000052F0: D81A04A0 0000BB0B
	ds_write_b32 v11, v188 offset:4352                         // 0000000052F8: D81A1100 0000BC0B
	ds_write_b32 v11, v189 offset:5408                         // 000000005300: D81A1520 0000BD0B
	ds_write_b32 v11, v190 offset:4480                         // 000000005308: D81A1180 0000BE0B
	ds_write_b32 v11, v191 offset:5536                         // 000000005310: D81A15A0 0000BF0B
	ds_write_b32 v11, v192 offset:8704                         // 000000005318: D81A2200 0000C00B
	ds_write_b32 v11, v193 offset:9760                         // 000000005320: D81A2620 0000C10B
	ds_write_b32 v11, v194 offset:8832                         // 000000005328: D81A2280 0000C20B
	ds_write_b32 v11, v195 offset:9888                         // 000000005330: D81A26A0 0000C30B
	ds_write_b32 v11, v196 offset:13056                        // 000000005338: D81A3300 0000C40B
	ds_write_b32 v11, v197 offset:14112                        // 000000005340: D81A3720 0000C50B
	ds_write_b32 v11, v198 offset:13184                        // 000000005348: D81A3380 0000C60B
	ds_write_b32 v11, v199 offset:14240                        // 000000005350: D81A37A0 0000C70B
	buffer_load_dword v184, v248, s[16:19], 0 idxen            // 000000005358: E0502000 8004B8F8
	buffer_load_dword v185, v249, s[16:19], 0 idxen            // 000000005360: E0502000 8004B9F9
	buffer_load_dword v186, v250, s[16:19], 0 idxen            // 000000005368: E0502000 8004BAFA
	buffer_load_dword v187, v251, s[16:19], 0 idxen            // 000000005370: E0502000 8004BBFB
	s_mul_i32 s60, 4, s7                                       // 000000005378: 923C0784
	s_cmp_lt_i32 2, s72                                        // 00000000537C: BF044882
	s_cselect_b32 s60, s60, 0                                  // 000000005380: 853C803C
	v_add_u32_e32 v248, s60, v248                              // 000000005384: 69F1F03C
	v_add_u32_e32 v249, s60, v249                              // 000000005388: 69F3F23C
	v_add_u32_e32 v250, s60, v250                              // 00000000538C: 69F5F43C
	v_add_u32_e32 v251, s60, v251                              // 000000005390: 69F7F63C
	buffer_load_dword v188, v248, s[16:19], 0 idxen            // 000000005394: E0502000 8004BCF8
	buffer_load_dword v189, v249, s[16:19], 0 idxen            // 00000000539C: E0502000 8004BDF9
	buffer_load_dword v190, v250, s[16:19], 0 idxen            // 0000000053A4: E0502000 8004BEFA
	buffer_load_dword v191, v251, s[16:19], 0 idxen            // 0000000053AC: E0502000 8004BFFB
	s_mul_i32 s60, 4, s7                                       // 0000000053B4: 923C0784
	s_cmp_lt_i32 2, s72                                        // 0000000053B8: BF044882
	s_cselect_b32 s60, s60, 0                                  // 0000000053BC: 853C803C
	v_add_u32_e32 v248, s60, v248                              // 0000000053C0: 69F1F03C
	v_add_u32_e32 v249, s60, v249                              // 0000000053C4: 69F3F23C
	v_add_u32_e32 v250, s60, v250                              // 0000000053C8: 69F5F43C
	v_add_u32_e32 v251, s60, v251                              // 0000000053CC: 69F7F63C
	buffer_load_dword v192, v248, s[16:19], 0 idxen            // 0000000053D0: E0502000 8004C0F8
	buffer_load_dword v193, v249, s[16:19], 0 idxen            // 0000000053D8: E0502000 8004C1F9
	buffer_load_dword v194, v250, s[16:19], 0 idxen            // 0000000053E0: E0502000 8004C2FA
	buffer_load_dword v195, v251, s[16:19], 0 idxen            // 0000000053E8: E0502000 8004C3FB
	s_mul_i32 s60, 4, s7                                       // 0000000053F0: 923C0784
	s_cmp_lt_i32 2, s72                                        // 0000000053F4: BF044882
	s_cselect_b32 s60, s60, 0                                  // 0000000053F8: 853C803C
	v_add_u32_e32 v248, s60, v248                              // 0000000053FC: 69F1F03C
	v_add_u32_e32 v249, s60, v249                              // 000000005400: 69F3F23C
	v_add_u32_e32 v250, s60, v250                              // 000000005404: 69F5F43C
	v_add_u32_e32 v251, s60, v251                              // 000000005408: 69F7F63C
	buffer_load_dword v196, v248, s[16:19], 0 idxen            // 00000000540C: E0502000 8004C4F8
	buffer_load_dword v197, v249, s[16:19], 0 idxen            // 000000005414: E0502000 8004C5F9
	buffer_load_dword v198, v250, s[16:19], 0 idxen            // 00000000541C: E0502000 8004C6FA
	buffer_load_dword v199, v251, s[16:19], 0 idxen            // 000000005424: E0502000 8004C7FB
	s_mul_i32 s60, 4, s7                                       // 00000000542C: 923C0784
	s_cmp_lt_i32 3, s72                                        // 000000005430: BF044883
	s_cselect_b32 s60, s60, 0                                  // 000000005434: 853C803C
	v_add_u32_e32 v248, s60, v248                              // 000000005438: 69F1F03C
	v_add_u32_e32 v249, s60, v249                              // 00000000543C: 69F3F23C
	v_add_u32_e32 v250, s60, v250                              // 000000005440: 69F5F43C
	v_add_u32_e32 v251, s60, v251                              // 000000005444: 69F7F63C
	s_waitcnt lgkmcnt(0)                                       // 000000005448: BF8CC07F
	s_barrier                                                  // 00000000544C: BF8A0000
	ds_read_b128 a[80:83], v23 offset:17408                    // 000000005450: DBFE4400 50000017
	ds_read_b128 a[84:87], v23 offset:17664                    // 000000005458: DBFE4500 54000017
	ds_read_b128 a[88:91], v23 offset:26112                    // 000000005460: DBFE6600 58000017
	ds_read_b128 a[92:95], v23 offset:26368                    // 000000005468: DBFE6700 5C000017
	ds_read_b128 a[32:35], v22                                 // 000000005470: DBFE0000 20000016
	ds_read_b128 a[36:39], v22 offset:512                      // 000000005478: DBFE0200 24000016
	ds_read_b128 a[40:43], v22 offset:2176                     // 000000005480: DBFE0880 28000016
	ds_read_b128 a[44:47], v22 offset:2688                     // 000000005488: DBFE0A80 2C000016
	s_waitcnt vmcnt(32) lgkmcnt(0)                             // 000000005490: BF8C8070
	s_barrier                                                  // 000000005494: BF8A0000
	s_cmp_lt_i32 0, s72                                        // 000000005498: BF044880
	s_cbranch_scc1 label_05B8                                  // 00000000549C: BF850010
	v_mov_b32_e32 v152, 0                                      // 0000000054A0: 7F300280
	v_mov_b32_e32 v153, 0                                      // 0000000054A4: 7F320280
	v_mov_b32_e32 v154, 0                                      // 0000000054A8: 7F340280
	v_mov_b32_e32 v155, 0                                      // 0000000054AC: 7F360280
	v_mov_b32_e32 v156, 0                                      // 0000000054B0: 7F380280
	v_mov_b32_e32 v157, 0                                      // 0000000054B4: 7F3A0280
	v_mov_b32_e32 v158, 0                                      // 0000000054B8: 7F3C0280
	v_mov_b32_e32 v159, 0                                      // 0000000054BC: 7F3E0280
	v_mov_b32_e32 v160, 0                                      // 0000000054C0: 7F400280
	v_mov_b32_e32 v161, 0                                      // 0000000054C4: 7F420280
	v_mov_b32_e32 v162, 0                                      // 0000000054C8: 7F440280
	v_mov_b32_e32 v163, 0                                      // 0000000054CC: 7F460280
	v_mov_b32_e32 v164, 0                                      // 0000000054D0: 7F480280
	v_mov_b32_e32 v165, 0                                      // 0000000054D4: 7F4A0280
	v_mov_b32_e32 v166, 0                                      // 0000000054D8: 7F4C0280
	v_mov_b32_e32 v167, 0                                      // 0000000054DC: 7F4E0280

00000000000054e0 <label_05B8>:
	ds_write_b32 v11, v152                                     // 0000000054E0: D81A0000 0000980B
	ds_write_b32 v11, v153 offset:1056                         // 0000000054E8: D81A0420 0000990B
	ds_write_b32 v11, v154 offset:128                          // 0000000054F0: D81A0080 00009A0B
	ds_write_b32 v11, v155 offset:1184                         // 0000000054F8: D81A04A0 00009B0B
	ds_write_b32 v11, v156 offset:4352                         // 000000005500: D81A1100 00009C0B
	ds_write_b32 v11, v157 offset:5408                         // 000000005508: D81A1520 00009D0B
	ds_write_b32 v11, v158 offset:4480                         // 000000005510: D81A1180 00009E0B
	ds_write_b32 v11, v159 offset:5536                         // 000000005518: D81A15A0 00009F0B
	ds_write_b32 v11, v160 offset:8704                         // 000000005520: D81A2200 0000A00B
	ds_write_b32 v11, v161 offset:9760                         // 000000005528: D81A2620 0000A10B
	ds_write_b32 v11, v162 offset:8832                         // 000000005530: D81A2280 0000A20B
	ds_write_b32 v11, v163 offset:9888                         // 000000005538: D81A26A0 0000A30B
	ds_write_b32 v11, v164 offset:13056                        // 000000005540: D81A3300 0000A40B
	ds_write_b32 v11, v165 offset:14112                        // 000000005548: D81A3720 0000A50B
	ds_write_b32 v11, v166 offset:13184                        // 000000005550: D81A3380 0000A60B
	ds_write_b32 v11, v167 offset:14240                        // 000000005558: D81A37A0 0000A70B
	s_mov_b32 s71, s5                                          // 000000005560: BEC70005
	v_lshrrev_b32_e32 v28, 4, v0                               // 000000005564: 20380084
	v_and_b32_e32 v29, 1, v28                                  // 000000005568: 263A3881
	v_lshlrev_b32_e32 v29, 1, v29                              // 00000000556C: 243A3A81
	v_mul_i32_i24_e32 v29, s71, v29                            // 000000005570: 0C3A3A47
	v_and_b32_e32 v30, 2, v28                                  // 000000005574: 263C3882
	v_lshlrev_b32_e32 v30, 5, v30                              // 000000005578: 243C3C85
	v_add_u32_e32 v29, v30, v29                                // 00000000557C: 683A3B1E
	v_and_b32_e32 v28, 15, v0                                  // 000000005580: 2638008F
	v_lshlrev_b32_e32 v28, 2, v28                              // 000000005584: 24383882
	v_add_u32_e32 v1, v28, v29                                 // 000000005588: 68023B1C
	s_and_b32 s60, 1, s46                                      // 00000000558C: 863C2E81
	s_mul_i32 s60, s60, s71                                    // 000000005590: 923C473C
	s_mul_i32 s60, s60, 8                                      // 000000005594: 923C883C
	s_lshr_b32 s61, s46, 1                                     // 000000005598: 8F3D812E
	s_mul_i32 s61, s61, 0x80                                   // 00000000559C: 923DFF3D 00000080
	s_add_u32 s60, s60, s61                                    // 0000000055A4: 803C3D3C
	v_add_u32_e32 v1, s60, v1                                  // 0000000055A8: 6802023C
	v_add_u32_e32 v2, s71, v1                                  // 0000000055AC: 68040247
	s_mul_i32 s60, 4, s71                                      // 0000000055B0: 923C4784
	v_add_u32_e32 v3, s60, v1                                  // 0000000055B4: 6806023C
	v_add_u32_e32 v4, s60, v2                                  // 0000000055B8: 6808043C
	s_mov_b32 s71, s51                                         // 0000000055BC: BEC70033
	v_lshrrev_b32_e32 v28, 4, v0                               // 0000000055C0: 20380084
	v_and_b32_e32 v29, 1, v28                                  // 0000000055C4: 263A3881
	v_lshlrev_b32_e32 v29, 1, v29                              // 0000000055C8: 243A3A81
	v_mul_i32_i24_e32 v29, s71, v29                            // 0000000055CC: 0C3A3A47
	v_and_b32_e32 v30, 2, v28                                  // 0000000055D0: 263C3882
	v_lshlrev_b32_e32 v30, 5, v30                              // 0000000055D4: 243C3C85
	v_add_u32_e32 v29, v30, v29                                // 0000000055D8: 683A3B1E
	v_and_b32_e32 v28, 15, v0                                  // 0000000055DC: 2638008F
	v_lshlrev_b32_e32 v28, 2, v28                              // 0000000055E0: 24383882
	v_add_u32_e32 v248, v28, v29                               // 0000000055E4: 69F03B1C
	s_and_b32 s60, 1, s46                                      // 0000000055E8: 863C2E81
	s_mul_i32 s60, s60, s71                                    // 0000000055EC: 923C473C
	s_mul_i32 s60, s60, 8                                      // 0000000055F0: 923C883C
	s_lshr_b32 s61, s46, 1                                     // 0000000055F4: 8F3D812E
	s_mul_i32 s61, s61, 0x80                                   // 0000000055F8: 923DFF3D 00000080
	s_add_u32 s60, s60, s61                                    // 000000005600: 803C3D3C
	v_add_u32_e32 v248, s60, v248                              // 000000005604: 69F1F03C
	v_add_u32_e32 v249, s71, v248                              // 000000005608: 69F3F047
	s_mul_i32 s60, 4, s71                                      // 00000000560C: 923C4784
	v_add_u32_e32 v250, s60, v248                              // 000000005610: 69F5F03C
	v_add_u32_e32 v251, s60, v249                              // 000000005614: 69F7F23C
	v_lshrrev_b32_e32 v1, 2, v1                                // 000000005618: 20020282
	v_lshrrev_b32_e32 v2, 2, v2                                // 00000000561C: 20040482
	v_lshrrev_b32_e32 v3, 2, v3                                // 000000005620: 20060682
	v_lshrrev_b32_e32 v4, 2, v4                                // 000000005624: 20080882
	v_lshrrev_b32_e32 v248, 2, v248                            // 000000005628: 21F1F082
	v_lshrrev_b32_e32 v249, 2, v249                            // 00000000562C: 21F3F282
	v_lshrrev_b32_e32 v250, 2, v250                            // 000000005630: 21F5F482
	v_lshrrev_b32_e32 v251, 2, v251                            // 000000005634: 21F7F682
	buffer_load_dword v32, v1, s[8:11], 0 idxen                // 000000005638: E0502000 80022001
	buffer_load_dword v33, v2, s[8:11], 0 idxen                // 000000005640: E0502000 80022102
	;; [unrolled: 1-line block ×4, first 2 shown]
	buffer_load_dword v40, v248, s[20:23], 0 idxen             // 000000005658: E0502000 800528F8
	buffer_load_dword v41, v249, s[20:23], 0 idxen             // 000000005660: E0502000 800529F9
	buffer_load_dword v42, v250, s[20:23], 0 idxen             // 000000005668: E0502000 80052AFA
	buffer_load_dword v43, v251, s[20:23], 0 idxen             // 000000005670: E0502000 80052BFB
	s_waitcnt lgkmcnt(0)                                       // 000000005678: BF8CC07F
	s_barrier                                                  // 00000000567C: BF8A0000
	ds_read_b128 a[96:99], v22                                 // 000000005680: DBFE0000 60000016
	ds_read_b128 a[100:103], v22 offset:512                    // 000000005688: DBFE0200 64000016
	ds_read_b128 a[104:107], v22 offset:2176                   // 000000005690: DBFE0880 68000016
	ds_read_b128 a[108:111], v22 offset:2688                   // 000000005698: DBFE0A80 6C000016
	v_add_u32_e32 v1, s68, v1                                  // 0000000056A0: 68020244
	v_add_u32_e32 v2, s68, v2                                  // 0000000056A4: 68040444
	v_add_u32_e32 v3, s68, v3                                  // 0000000056A8: 68060644
	v_add_u32_e32 v4, s68, v4                                  // 0000000056AC: 68080844
	v_add_u32_e32 v248, s100, v248                             // 0000000056B0: 69F1F064
	v_add_u32_e32 v249, s100, v249                             // 0000000056B4: 69F3F264
	v_add_u32_e32 v250, s100, v250                             // 0000000056B8: 69F5F464
	v_add_u32_e32 v251, s100, v251                             // 0000000056BC: 69F7F664
	s_waitcnt vmcnt(24) lgkmcnt(0)                             // 0000000056C0: BF8C4078
	s_barrier                                                  // 0000000056C4: BF8A0000
	s_cmp_lt_i32 1, s72                                        // 0000000056C8: BF044881
	s_cbranch_scc1 label_0644                                  // 0000000056CC: BF850010
	v_mov_b32_e32 v168, 0                                      // 0000000056D0: 7F500280
	v_mov_b32_e32 v169, 0                                      // 0000000056D4: 7F520280
	v_mov_b32_e32 v170, 0                                      // 0000000056D8: 7F540280
	v_mov_b32_e32 v171, 0                                      // 0000000056DC: 7F560280
	v_mov_b32_e32 v172, 0                                      // 0000000056E0: 7F580280
	v_mov_b32_e32 v173, 0                                      // 0000000056E4: 7F5A0280
	v_mov_b32_e32 v174, 0                                      // 0000000056E8: 7F5C0280
	v_mov_b32_e32 v175, 0                                      // 0000000056EC: 7F5E0280
	v_mov_b32_e32 v176, 0                                      // 0000000056F0: 7F600280
	v_mov_b32_e32 v177, 0                                      // 0000000056F4: 7F620280
	v_mov_b32_e32 v178, 0                                      // 0000000056F8: 7F640280
	v_mov_b32_e32 v179, 0                                      // 0000000056FC: 7F660280
	v_mov_b32_e32 v180, 0                                      // 000000005700: 7F680280
	v_mov_b32_e32 v181, 0                                      // 000000005704: 7F6A0280
	v_mov_b32_e32 v182, 0                                      // 000000005708: 7F6C0280
	v_mov_b32_e32 v183, 0                                      // 00000000570C: 7F6E0280

0000000000005710 <label_0644>:
	ds_write_b32 v11, v168                                     // 000000005710: D81A0000 0000A80B
	ds_write_b32 v11, v169 offset:1056                         // 000000005718: D81A0420 0000A90B
	ds_write_b32 v11, v170 offset:128                          // 000000005720: D81A0080 0000AA0B
	ds_write_b32 v11, v171 offset:1184                         // 000000005728: D81A04A0 0000AB0B
	ds_write_b32 v11, v172 offset:4352                         // 000000005730: D81A1100 0000AC0B
	ds_write_b32 v11, v173 offset:5408                         // 000000005738: D81A1520 0000AD0B
	ds_write_b32 v11, v174 offset:4480                         // 000000005740: D81A1180 0000AE0B
	ds_write_b32 v11, v175 offset:5536                         // 000000005748: D81A15A0 0000AF0B
	ds_write_b32 v11, v176 offset:8704                         // 000000005750: D81A2200 0000B00B
	ds_write_b32 v11, v177 offset:9760                         // 000000005758: D81A2620 0000B10B
	ds_write_b32 v11, v178 offset:8832                         // 000000005760: D81A2280 0000B20B
	ds_write_b32 v11, v179 offset:9888                         // 000000005768: D81A26A0 0000B30B
	ds_write_b32 v11, v180 offset:13056                        // 000000005770: D81A3300 0000B40B
	ds_write_b32 v11, v181 offset:14112                        // 000000005778: D81A3720 0000B50B
	ds_write_b32 v11, v182 offset:13184                        // 000000005780: D81A3380 0000B60B
	ds_write_b32 v11, v183 offset:14240                        // 000000005788: D81A37A0 0000B70B
	buffer_load_dword v36, v1, s[8:11], 0 idxen                // 000000005790: E0502000 80022401
	buffer_load_dword v37, v2, s[8:11], 0 idxen                // 000000005798: E0502000 80022502
	buffer_load_dword v38, v3, s[8:11], 0 idxen                // 0000000057A0: E0502000 80022603
	buffer_load_dword v39, v4, s[8:11], 0 idxen                // 0000000057A8: E0502000 80022704
	buffer_load_dword v44, v248, s[20:23], 0 idxen             // 0000000057B0: E0502000 80052CF8
	buffer_load_dword v45, v249, s[20:23], 0 idxen             // 0000000057B8: E0502000 80052DF9
	buffer_load_dword v46, v250, s[20:23], 0 idxen             // 0000000057C0: E0502000 80052EFA
	buffer_load_dword v47, v251, s[20:23], 0 idxen             // 0000000057C8: E0502000 80052FFB
	s_waitcnt lgkmcnt(0)                                       // 0000000057D0: BF8CC07F
	s_barrier                                                  // 0000000057D4: BF8A0000
	ds_read_b128 a[112:115], v22                               // 0000000057D8: DBFE0000 70000016
	ds_read_b128 a[116:119], v22 offset:512                    // 0000000057E0: DBFE0200 74000016
	ds_read_b128 a[120:123], v22 offset:2176                   // 0000000057E8: DBFE0880 78000016
	ds_read_b128 a[124:127], v22 offset:2688                   // 0000000057F0: DBFE0A80 7C000016
	v_add_u32_e32 v1, s68, v1                                  // 0000000057F8: 68020244
	v_add_u32_e32 v2, s68, v2                                  // 0000000057FC: 68040444
	v_add_u32_e32 v3, s68, v3                                  // 000000005800: 68060644
	v_add_u32_e32 v4, s68, v4                                  // 000000005804: 68080844
	v_add_u32_e32 v248, s100, v248                             // 000000005808: 69F1F064
	v_add_u32_e32 v249, s100, v249                             // 00000000580C: 69F3F264
	v_add_u32_e32 v250, s100, v250                             // 000000005810: 69F5F464
	v_add_u32_e32 v251, s100, v251                             // 000000005814: 69F7F664
	s_waitcnt vmcnt(16) lgkmcnt(0)                             // 000000005818: BF8C4070
	s_barrier                                                  // 00000000581C: BF8A0000
	s_cmp_lt_i32 2, s72                                        // 000000005820: BF044882
	s_cbranch_scc1 label_069A                                  // 000000005824: BF850010
	v_mov_b32_e32 v184, 0                                      // 000000005828: 7F700280
	v_mov_b32_e32 v185, 0                                      // 00000000582C: 7F720280
	v_mov_b32_e32 v186, 0                                      // 000000005830: 7F740280
	v_mov_b32_e32 v187, 0                                      // 000000005834: 7F760280
	v_mov_b32_e32 v188, 0                                      // 000000005838: 7F780280
	v_mov_b32_e32 v189, 0                                      // 00000000583C: 7F7A0280
	v_mov_b32_e32 v190, 0                                      // 000000005840: 7F7C0280
	v_mov_b32_e32 v191, 0                                      // 000000005844: 7F7E0280
	v_mov_b32_e32 v192, 0                                      // 000000005848: 7F800280
	v_mov_b32_e32 v193, 0                                      // 00000000584C: 7F820280
	v_mov_b32_e32 v194, 0                                      // 000000005850: 7F840280
	v_mov_b32_e32 v195, 0                                      // 000000005854: 7F860280
	v_mov_b32_e32 v196, 0                                      // 000000005858: 7F880280
	v_mov_b32_e32 v197, 0                                      // 00000000585C: 7F8A0280
	v_mov_b32_e32 v198, 0                                      // 000000005860: 7F8C0280
	v_mov_b32_e32 v199, 0                                      // 000000005864: 7F8E0280

0000000000005868 <label_069A>:
	ds_write_b32 v11, v184                                     // 000000005868: D81A0000 0000B80B
	ds_write_b32 v11, v185 offset:1056                         // 000000005870: D81A0420 0000B90B
	ds_write_b32 v11, v186 offset:128                          // 000000005878: D81A0080 0000BA0B
	ds_write_b32 v11, v187 offset:1184                         // 000000005880: D81A04A0 0000BB0B
	ds_write_b32 v11, v188 offset:4352                         // 000000005888: D81A1100 0000BC0B
	ds_write_b32 v11, v189 offset:5408                         // 000000005890: D81A1520 0000BD0B
	ds_write_b32 v11, v190 offset:4480                         // 000000005898: D81A1180 0000BE0B
	ds_write_b32 v11, v191 offset:5536                         // 0000000058A0: D81A15A0 0000BF0B
	ds_write_b32 v11, v192 offset:8704                         // 0000000058A8: D81A2200 0000C00B
	ds_write_b32 v11, v193 offset:9760                         // 0000000058B0: D81A2620 0000C10B
	ds_write_b32 v11, v194 offset:8832                         // 0000000058B8: D81A2280 0000C20B
	ds_write_b32 v11, v195 offset:9888                         // 0000000058C0: D81A26A0 0000C30B
	ds_write_b32 v11, v196 offset:13056                        // 0000000058C8: D81A3300 0000C40B
	ds_write_b32 v11, v197 offset:14112                        // 0000000058D0: D81A3720 0000C50B
	ds_write_b32 v11, v198 offset:13184                        // 0000000058D8: D81A3380 0000C60B
	ds_write_b32 v11, v199 offset:14240                        // 0000000058E0: D81A37A0 0000C70B
	s_waitcnt lgkmcnt(0)                                       // 0000000058E8: BF8CC07F
	s_barrier                                                  // 0000000058EC: BF8A0000
	ds_read_b128 a[128:131], v22                               // 0000000058F0: DBFE0000 80000016
	ds_read_b128 a[132:135], v22 offset:512                    // 0000000058F8: DBFE0200 84000016
	ds_read_b128 a[136:139], v22 offset:2176                   // 000000005900: DBFE0880 88000016
	ds_read_b128 a[140:143], v22 offset:2688                   // 000000005908: DBFE0A80 8C000016
	s_waitcnt vmcnt(8) lgkmcnt(0)                              // 000000005910: BF8C0078
	s_barrier                                                  // 000000005914: BF8A0000
	buffer_load_dword v9, s[24:27], 0 idxen lds                // 000000005918: E0512000 80060009
	s_mov_b32 m0, s79                                          // 000000005920: BEFC004F
	v_add_u32_e32 v9, s69, v9                                  // 000000005924: 68121245
	v_perm_b32 v84, v33, v32, s63                              // 000000005928: D1ED0054 00FE4121
	v_perm_b32 v85, v33, v32, s64                              // 000000005930: D1ED0055 01024121
	v_perm_b32 v86, v35, v34, s63                              // 000000005938: D1ED0056 00FE4523
	v_perm_b32 v87, v35, v34, s64                              // 000000005940: D1ED0057 01024523
	ds_write_b32 v13, v84 offset:4352                          // 000000005948: D81A1100 0000540D
	ds_write_b32 v13, v85 offset:5408                          // 000000005950: D81A1520 0000550D
	ds_write_b32 v13, v86 offset:4480                          // 000000005958: D81A1180 0000560D
	ds_write_b32 v13, v87 offset:5536                          // 000000005960: D81A15A0 0000570D
	ds_write_b32 v11, v32                                      // 000000005968: D81A0000 0000200B
	ds_write_b32 v11, v33 offset:1056                          // 000000005970: D81A0420 0000210B
	ds_write_b32 v11, v34 offset:128                           // 000000005978: D81A0080 0000220B
	ds_write_b32 v11, v35 offset:1184                          // 000000005980: D81A04A0 0000230B
	buffer_load_dword v9, s[24:27], 0 idxen lds                // 000000005988: E0512000 80060009
	s_mov_b32 m0, s78                                          // 000000005990: BEFC004E
	v_add_u32_e32 v9, s69, v9                                  // 000000005994: 68121245
	v_perm_b32 v88, v41, v40, s63                              // 000000005998: D1ED0058 00FE5129
	v_perm_b32 v89, v41, v40, s64                              // 0000000059A0: D1ED0059 01025129
	v_perm_b32 v90, v43, v42, s63                              // 0000000059A8: D1ED005A 00FE552B
	v_perm_b32 v91, v43, v42, s64                              // 0000000059B0: D1ED005B 0102552B
	ds_write_b32 v13, v88 offset:13056                         // 0000000059B8: D81A3300 0000580D
	ds_write_b32 v13, v89 offset:14112                         // 0000000059C0: D81A3720 0000590D
	ds_write_b32 v13, v90 offset:13184                         // 0000000059C8: D81A3380 00005A0D
	ds_write_b32 v13, v91 offset:14240                         // 0000000059D0: D81A37A0 00005B0D
	ds_write_b32 v11, v40 offset:8704                          // 0000000059D8: D81A2200 0000280B
	ds_write_b32 v11, v41 offset:9760                          // 0000000059E0: D81A2620 0000290B
	ds_write_b32 v11, v42 offset:8832                          // 0000000059E8: D81A2280 00002A0B
	ds_write_b32 v11, v43 offset:9888                          // 0000000059F0: D81A26A0 00002B0B
	s_waitcnt vmcnt(1) lgkmcnt(0)                              // 0000000059F8: BF8C0071
	s_barrier                                                  // 0000000059FC: BF8A0000
	ds_read_b128 a[144:147], v10                               // 000000005A00: DBFE0000 9000000A
	ds_read_b128 a[148:151], v10 offset:512                    // 000000005A08: DBFE0200 9400000A
	ds_read_b128 a[152:155], v10 offset:2176                   // 000000005A10: DBFE0880 9800000A
	ds_read_b128 a[156:159], v10 offset:2688                   // 000000005A18: DBFE0A80 9C00000A
	ds_read_b128 v[92:95], v10 offset:8704                     // 000000005A20: D9FE2200 5C00000A
	ds_read_b128 v[96:99], v10 offset:9216                     // 000000005A28: D9FE2400 6000000A
	ds_read_b128 v[100:103], v10 offset:10880                  // 000000005A30: D9FE2A80 6400000A
	ds_read_b128 v[104:107], v10 offset:11392                  // 000000005A38: D9FE2C80 6800000A
	ds_read_b32 v124, v21 offset:50688                         // 000000005A40: D86CC600 7C000015
	ds_read_b32 v150, v21 offset:50944                         // 000000005A48: D86CC700 96000015
	v_accvgpr_write_b32 a160, 0                                // 000000005A50: D3D940A0 18000080
	v_mov_b32_e32 v152, 0                                      // 000000005A58: 7F300280
	v_accvgpr_write_b32 a161, 0                                // 000000005A5C: D3D940A1 18000080
	v_mov_b32_e32 v153, 0                                      // 000000005A64: 7F320280
	v_accvgpr_write_b32 a162, 0                                // 000000005A68: D3D940A2 18000080
	v_mov_b32_e32 v154, 0                                      // 000000005A70: 7F340280
	v_accvgpr_write_b32 a163, 0                                // 000000005A74: D3D940A3 18000080
	v_mov_b32_e32 v155, 0                                      // 000000005A7C: 7F360280
	v_accvgpr_write_b32 a164, 0                                // 000000005A80: D3D940A4 18000080
	v_mov_b32_e32 v156, 0                                      // 000000005A88: 7F380280
	v_accvgpr_write_b32 a165, 0                                // 000000005A8C: D3D940A5 18000080
	v_mov_b32_e32 v157, 0                                      // 000000005A94: 7F3A0280
	v_accvgpr_write_b32 a166, 0                                // 000000005A98: D3D940A6 18000080
	v_mov_b32_e32 v158, 0                                      // 000000005AA0: 7F3C0280
	v_accvgpr_write_b32 a167, 0                                // 000000005AA4: D3D940A7 18000080
	v_mov_b32_e32 v159, 0                                      // 000000005AAC: 7F3E0280
	v_accvgpr_write_b32 a168, 0                                // 000000005AB0: D3D940A8 18000080
	v_mov_b32_e32 v160, 0                                      // 000000005AB8: 7F400280
	v_accvgpr_write_b32 a169, 0                                // 000000005ABC: D3D940A9 18000080
	v_mov_b32_e32 v161, 0                                      // 000000005AC4: 7F420280
	v_accvgpr_write_b32 a170, 0                                // 000000005AC8: D3D940AA 18000080
	v_mov_b32_e32 v162, 0                                      // 000000005AD0: 7F440280
	v_accvgpr_write_b32 a171, 0                                // 000000005AD4: D3D940AB 18000080
	v_mov_b32_e32 v163, 0                                      // 000000005ADC: 7F460280
	v_accvgpr_write_b32 a172, 0                                // 000000005AE0: D3D940AC 18000080
	v_mov_b32_e32 v164, 0                                      // 000000005AE8: 7F480280
	v_accvgpr_write_b32 a173, 0                                // 000000005AEC: D3D940AD 18000080
	v_mov_b32_e32 v165, 0                                      // 000000005AF4: 7F4A0280
	v_accvgpr_write_b32 a174, 0                                // 000000005AF8: D3D940AE 18000080
	v_mov_b32_e32 v166, 0                                      // 000000005B00: 7F4C0280
	v_accvgpr_write_b32 a175, 0                                // 000000005B04: D3D940AF 18000080
	v_mov_b32_e32 v167, 0                                      // 000000005B0C: 7F4E0280
	v_accvgpr_write_b32 a176, 0                                // 000000005B10: D3D940B0 18000080
	v_mov_b32_e32 v168, 0                                      // 000000005B18: 7F500280
	v_accvgpr_write_b32 a177, 0                                // 000000005B1C: D3D940B1 18000080
	v_mov_b32_e32 v169, 0                                      // 000000005B24: 7F520280
	v_accvgpr_write_b32 a178, 0                                // 000000005B28: D3D940B2 18000080
	v_mov_b32_e32 v170, 0                                      // 000000005B30: 7F540280
	v_accvgpr_write_b32 a179, 0                                // 000000005B34: D3D940B3 18000080
	v_mov_b32_e32 v171, 0                                      // 000000005B3C: 7F560280
	v_accvgpr_write_b32 a180, 0                                // 000000005B40: D3D940B4 18000080
	v_mov_b32_e32 v172, 0                                      // 000000005B48: 7F580280
	v_accvgpr_write_b32 a181, 0                                // 000000005B4C: D3D940B5 18000080
	v_mov_b32_e32 v173, 0                                      // 000000005B54: 7F5A0280
	v_accvgpr_write_b32 a182, 0                                // 000000005B58: D3D940B6 18000080
	v_mov_b32_e32 v174, 0                                      // 000000005B60: 7F5C0280
	v_accvgpr_write_b32 a183, 0                                // 000000005B64: D3D940B7 18000080
	v_mov_b32_e32 v175, 0                                      // 000000005B6C: 7F5E0280
	v_accvgpr_write_b32 a184, 0                                // 000000005B70: D3D940B8 18000080
	v_mov_b32_e32 v176, 0                                      // 000000005B78: 7F600280
	v_accvgpr_write_b32 a185, 0                                // 000000005B7C: D3D940B9 18000080
	v_mov_b32_e32 v177, 0                                      // 000000005B84: 7F620280
	v_accvgpr_write_b32 a186, 0                                // 000000005B88: D3D940BA 18000080
	v_mov_b32_e32 v178, 0                                      // 000000005B90: 7F640280
	v_accvgpr_write_b32 a187, 0                                // 000000005B94: D3D940BB 18000080
	v_mov_b32_e32 v179, 0                                      // 000000005B9C: 7F660280
	v_accvgpr_write_b32 a188, 0                                // 000000005BA0: D3D940BC 18000080
	v_mov_b32_e32 v180, 0                                      // 000000005BA8: 7F680280
	v_accvgpr_write_b32 a189, 0                                // 000000005BAC: D3D940BD 18000080
	v_mov_b32_e32 v181, 0                                      // 000000005BB4: 7F6A0280
	v_accvgpr_write_b32 a190, 0                                // 000000005BB8: D3D940BE 18000080
	v_mov_b32_e32 v182, 0                                      // 000000005BC0: 7F6C0280
	v_accvgpr_write_b32 a191, 0                                // 000000005BC4: D3D940BF 18000080
	v_mov_b32_e32 v183, 0                                      // 000000005BCC: 7F6E0280
	v_accvgpr_write_b32 a192, 0                                // 000000005BD0: D3D940C0 18000080
	v_mov_b32_e32 v184, 0                                      // 000000005BD8: 7F700280
	v_accvgpr_write_b32 a193, 0                                // 000000005BDC: D3D940C1 18000080
	v_mov_b32_e32 v185, 0                                      // 000000005BE4: 7F720280
	v_accvgpr_write_b32 a194, 0                                // 000000005BE8: D3D940C2 18000080
	v_mov_b32_e32 v186, 0                                      // 000000005BF0: 7F740280
	v_accvgpr_write_b32 a195, 0                                // 000000005BF4: D3D940C3 18000080
	v_mov_b32_e32 v187, 0                                      // 000000005BFC: 7F760280
	v_accvgpr_write_b32 a196, 0                                // 000000005C00: D3D940C4 18000080
	v_mov_b32_e32 v188, 0                                      // 000000005C08: 7F780280
	v_accvgpr_write_b32 a197, 0                                // 000000005C0C: D3D940C5 18000080
	v_mov_b32_e32 v189, 0                                      // 000000005C14: 7F7A0280
	v_accvgpr_write_b32 a198, 0                                // 000000005C18: D3D940C6 18000080
	v_mov_b32_e32 v190, 0                                      // 000000005C20: 7F7C0280
	v_accvgpr_write_b32 a199, 0                                // 000000005C24: D3D940C7 18000080
	v_mov_b32_e32 v191, 0                                      // 000000005C2C: 7F7E0280
	v_accvgpr_write_b32 a200, 0                                // 000000005C30: D3D940C8 18000080
	v_mov_b32_e32 v192, 0                                      // 000000005C38: 7F800280
	v_accvgpr_write_b32 a201, 0                                // 000000005C3C: D3D940C9 18000080
	v_mov_b32_e32 v193, 0                                      // 000000005C44: 7F820280
	v_accvgpr_write_b32 a202, 0                                // 000000005C48: D3D940CA 18000080
	v_mov_b32_e32 v194, 0                                      // 000000005C50: 7F840280
	v_accvgpr_write_b32 a203, 0                                // 000000005C54: D3D940CB 18000080
	v_mov_b32_e32 v195, 0                                      // 000000005C5C: 7F860280
	v_accvgpr_write_b32 a204, 0                                // 000000005C60: D3D940CC 18000080
	v_mov_b32_e32 v196, 0                                      // 000000005C68: 7F880280
	v_accvgpr_write_b32 a205, 0                                // 000000005C6C: D3D940CD 18000080
	v_mov_b32_e32 v197, 0                                      // 000000005C74: 7F8A0280
	v_accvgpr_write_b32 a206, 0                                // 000000005C78: D3D940CE 18000080
	v_mov_b32_e32 v198, 0                                      // 000000005C80: 7F8C0280
	v_accvgpr_write_b32 a207, 0                                // 000000005C84: D3D940CF 18000080
	v_mov_b32_e32 v199, 0                                      // 000000005C8C: 7F8E0280
	v_accvgpr_write_b32 a208, 0                                // 000000005C90: D3D940D0 18000080
	v_mov_b32_e32 v200, 0                                      // 000000005C98: 7F900280
	v_accvgpr_write_b32 a209, 0                                // 000000005C9C: D3D940D1 18000080
	v_mov_b32_e32 v201, 0                                      // 000000005CA4: 7F920280
	v_accvgpr_write_b32 a210, 0                                // 000000005CA8: D3D940D2 18000080
	v_mov_b32_e32 v202, 0                                      // 000000005CB0: 7F940280
	v_accvgpr_write_b32 a211, 0                                // 000000005CB4: D3D940D3 18000080
	v_mov_b32_e32 v203, 0                                      // 000000005CBC: 7F960280
	v_accvgpr_write_b32 a212, 0                                // 000000005CC0: D3D940D4 18000080
	v_mov_b32_e32 v204, 0                                      // 000000005CC8: 7F980280
	v_accvgpr_write_b32 a213, 0                                // 000000005CCC: D3D940D5 18000080
	v_mov_b32_e32 v205, 0                                      // 000000005CD4: 7F9A0280
	v_accvgpr_write_b32 a214, 0                                // 000000005CD8: D3D940D6 18000080
	v_mov_b32_e32 v206, 0                                      // 000000005CE0: 7F9C0280
	v_accvgpr_write_b32 a215, 0                                // 000000005CE4: D3D940D7 18000080
	v_mov_b32_e32 v207, 0                                      // 000000005CEC: 7F9E0280
	v_accvgpr_write_b32 a216, 0                                // 000000005CF0: D3D940D8 18000080
	v_mov_b32_e32 v208, 0                                      // 000000005CF8: 7FA00280
	v_accvgpr_write_b32 a217, 0                                // 000000005CFC: D3D940D9 18000080
	v_mov_b32_e32 v209, 0                                      // 000000005D04: 7FA20280
	v_accvgpr_write_b32 a218, 0                                // 000000005D08: D3D940DA 18000080
	v_mov_b32_e32 v210, 0                                      // 000000005D10: 7FA40280
	v_accvgpr_write_b32 a219, 0                                // 000000005D14: D3D940DB 18000080
	v_mov_b32_e32 v211, 0                                      // 000000005D1C: 7FA60280
	v_accvgpr_write_b32 a220, 0                                // 000000005D20: D3D940DC 18000080
	v_mov_b32_e32 v212, 0                                      // 000000005D28: 7FA80280
	v_accvgpr_write_b32 a221, 0                                // 000000005D2C: D3D940DD 18000080
	v_mov_b32_e32 v213, 0                                      // 000000005D34: 7FAA0280
	v_accvgpr_write_b32 a222, 0                                // 000000005D38: D3D940DE 18000080
	v_mov_b32_e32 v214, 0                                      // 000000005D40: 7FAC0280
	v_accvgpr_write_b32 a223, 0                                // 000000005D44: D3D940DF 18000080
	v_mov_b32_e32 v215, 0                                      // 000000005D4C: 7FAE0280
	v_accvgpr_write_b32 a224, 0                                // 000000005D50: D3D940E0 18000080
	v_mov_b32_e32 v216, 0                                      // 000000005D58: 7FB00280
	v_accvgpr_write_b32 a225, 0                                // 000000005D5C: D3D940E1 18000080
	v_mov_b32_e32 v217, 0                                      // 000000005D64: 7FB20280
	v_accvgpr_write_b32 a226, 0                                // 000000005D68: D3D940E2 18000080
	v_mov_b32_e32 v218, 0                                      // 000000005D70: 7FB40280
	v_accvgpr_write_b32 a227, 0                                // 000000005D74: D3D940E3 18000080
	v_mov_b32_e32 v219, 0                                      // 000000005D7C: 7FB60280
	v_accvgpr_write_b32 a228, 0                                // 000000005D80: D3D940E4 18000080
	v_mov_b32_e32 v220, 0                                      // 000000005D88: 7FB80280
	v_accvgpr_write_b32 a229, 0                                // 000000005D8C: D3D940E5 18000080
	v_mov_b32_e32 v221, 0                                      // 000000005D94: 7FBA0280
	v_accvgpr_write_b32 a230, 0                                // 000000005D98: D3D940E6 18000080
	v_mov_b32_e32 v222, 0                                      // 000000005DA0: 7FBC0280
	v_accvgpr_write_b32 a231, 0                                // 000000005DA4: D3D940E7 18000080
	v_mov_b32_e32 v223, 0                                      // 000000005DAC: 7FBE0280
	v_accvgpr_write_b32 a232, 0                                // 000000005DB0: D3D940E8 18000080
	v_mov_b32_e32 v224, 0                                      // 000000005DB8: 7FC00280
	v_accvgpr_write_b32 a233, 0                                // 000000005DBC: D3D940E9 18000080
	v_mov_b32_e32 v225, 0                                      // 000000005DC4: 7FC20280
	v_accvgpr_write_b32 a234, 0                                // 000000005DC8: D3D940EA 18000080
	v_mov_b32_e32 v226, 0                                      // 000000005DD0: 7FC40280
	v_accvgpr_write_b32 a235, 0                                // 000000005DD4: D3D940EB 18000080
	v_mov_b32_e32 v227, 0                                      // 000000005DDC: 7FC60280
	v_accvgpr_write_b32 a236, 0                                // 000000005DE0: D3D940EC 18000080
	v_mov_b32_e32 v228, 0                                      // 000000005DE8: 7FC80280
	v_accvgpr_write_b32 a237, 0                                // 000000005DEC: D3D940ED 18000080
	v_mov_b32_e32 v229, 0                                      // 000000005DF4: 7FCA0280
	v_accvgpr_write_b32 a238, 0                                // 000000005DF8: D3D940EE 18000080
	v_mov_b32_e32 v230, 0                                      // 000000005E00: 7FCC0280
	v_accvgpr_write_b32 a239, 0                                // 000000005E04: D3D940EF 18000080
	v_mov_b32_e32 v231, 0                                      // 000000005E0C: 7FCE0280
	v_accvgpr_write_b32 a240, 0                                // 000000005E10: D3D940F0 18000080
	v_mov_b32_e32 v232, 0                                      // 000000005E18: 7FD00280
	v_accvgpr_write_b32 a241, 0                                // 000000005E1C: D3D940F1 18000080
	v_mov_b32_e32 v233, 0                                      // 000000005E24: 7FD20280
	v_accvgpr_write_b32 a242, 0                                // 000000005E28: D3D940F2 18000080
	v_mov_b32_e32 v234, 0                                      // 000000005E30: 7FD40280
	v_accvgpr_write_b32 a243, 0                                // 000000005E34: D3D940F3 18000080
	v_mov_b32_e32 v235, 0                                      // 000000005E3C: 7FD60280
	v_accvgpr_write_b32 a244, 0                                // 000000005E40: D3D940F4 18000080
	v_mov_b32_e32 v236, 0                                      // 000000005E48: 7FD80280
	v_accvgpr_write_b32 a245, 0                                // 000000005E4C: D3D940F5 18000080
	v_mov_b32_e32 v237, 0                                      // 000000005E54: 7FDA0280
	v_accvgpr_write_b32 a246, 0                                // 000000005E58: D3D940F6 18000080
	v_mov_b32_e32 v238, 0                                      // 000000005E60: 7FDC0280
	v_accvgpr_write_b32 a247, 0                                // 000000005E64: D3D940F7 18000080
	v_mov_b32_e32 v239, 0                                      // 000000005E6C: 7FDE0280
	v_accvgpr_write_b32 a248, 0                                // 000000005E70: D3D940F8 18000080
	v_mov_b32_e32 v240, 0                                      // 000000005E78: 7FE00280
	v_accvgpr_write_b32 a249, 0                                // 000000005E7C: D3D940F9 18000080
	v_mov_b32_e32 v241, 0                                      // 000000005E84: 7FE20280
	v_accvgpr_write_b32 a250, 0                                // 000000005E88: D3D940FA 18000080
	v_mov_b32_e32 v242, 0                                      // 000000005E90: 7FE40280
	v_accvgpr_write_b32 a251, 0                                // 000000005E94: D3D940FB 18000080
	v_mov_b32_e32 v243, 0                                      // 000000005E9C: 7FE60280
	v_accvgpr_write_b32 a252, 0                                // 000000005EA0: D3D940FC 18000080
	v_mov_b32_e32 v244, 0                                      // 000000005EA8: 7FE80280
	v_accvgpr_write_b32 a253, 0                                // 000000005EAC: D3D940FD 18000080
	v_mov_b32_e32 v245, 0                                      // 000000005EB4: 7FEA0280
	v_accvgpr_write_b32 a254, 0                                // 000000005EB8: D3D940FE 18000080
	v_mov_b32_e32 v246, 0                                      // 000000005EC0: 7FEC0280
	v_accvgpr_write_b32 a255, 0                                // 000000005EC4: D3D940FF 18000080
	v_mov_b32_e32 v247, 0                                      // 000000005ECC: 7FEE0280
	v_mov_b32_e32 v136, 0                                      // 000000005ED0: 7F100280
	v_mov_b32_e32 v137, 0                                      // 000000005ED4: 7F120280
	v_mov_b32_e32 v138, 0                                      // 000000005ED8: 7F140280
	v_mov_b32_e32 v139, 0                                      // 000000005EDC: 7F160280
	v_mov_b32_e32 v140, 0                                      // 000000005EE0: 7F180280
	v_mov_b32_e32 v141, 0                                      // 000000005EE4: 7F1A0280
	v_mov_b32_e32 v142, 0                                      // 000000005EE8: 7F1C0280
	v_mov_b32_e32 v143, 0                                      // 000000005EEC: 7F1E0280
	v_mov_b32_e32 v128, 0                                      // 000000005EF0: 7F000280
	v_mov_b32_e32 v129, 0                                      // 000000005EF4: 7F020280
	v_mov_b32_e32 v130, 0                                      // 000000005EF8: 7F040280
	v_mov_b32_e32 v131, 0                                      // 000000005EFC: 7F060280
	v_mov_b32_e32 v132, 0                                      // 000000005F00: 7F080280
	v_mov_b32_e32 v133, 0                                      // 000000005F04: 7F0A0280
	v_mov_b32_e32 v134, 0                                      // 000000005F08: 7F0C0280
	v_mov_b32_e32 v135, 0                                      // 000000005F0C: 7F0E0280
	s_waitcnt lgkmcnt(0)                                       // 000000005F10: BF8CC07F
	s_barrier                                                  // 000000005F14: BF8A0000
	buffer_load_dword v32, v1, s[8:11], 0 idxen                // 000000005F18: E0502000 80022001
	buffer_load_dword v33, v2, s[8:11], 0 idxen                // 000000005F20: E0502000 80022102
	buffer_load_dword v34, v3, s[8:11], 0 idxen                // 000000005F28: E0502000 80022203
	buffer_load_dword v35, v4, s[8:11], 0 idxen                // 000000005F30: E0502000 80022304
	buffer_load_dword v40, v248, s[20:23], 0 idxen             // 000000005F38: E0502000 800528F8
	buffer_load_dword v41, v249, s[20:23], 0 idxen             // 000000005F40: E0502000 800529F9
	buffer_load_dword v42, v250, s[20:23], 0 idxen             // 000000005F48: E0502000 80052AFA
	buffer_load_dword v43, v251, s[20:23], 0 idxen             // 000000005F50: E0502000 80052BFB
	buffer_load_dword v9, s[24:27], 0 idxen lds                // 000000005F58: E0512000 80060009
	s_mov_b32 m0, s79                                          // 000000005F60: BEFC004F
	v_add_u32_e32 v9, s69, v9                                  // 000000005F64: 68121245
	v_add_u32_e32 v1, s68, v1                                  // 000000005F68: 68020244
	v_add_u32_e32 v2, s68, v2                                  // 000000005F6C: 68040444
	v_add_u32_e32 v3, s68, v3                                  // 000000005F70: 68060644
	v_add_u32_e32 v4, s68, v4                                  // 000000005F74: 68080844
	v_add_u32_e32 v248, s100, v248                             // 000000005F78: 69F1F064
	v_add_u32_e32 v249, s100, v249                             // 000000005F7C: 69F3F264
	v_add_u32_e32 v250, s100, v250                             // 000000005F80: 69F5F464
	v_add_u32_e32 v251, s100, v251                             // 000000005F84: 69F7F664
	v_mul_f32_e32 v124, s48, v124                              // 000000005F88: 0AF8F830
	v_perm_b32 v84, v37, v36, s63                              // 000000005F8C: D1ED0054 00FE4925
	v_perm_b32 v85, v37, v36, s64                              // 000000005F94: D1ED0055 01024925
	v_perm_b32 v86, v39, v38, s63                              // 000000005F9C: D1ED0056 00FE4D27
	v_perm_b32 v87, v39, v38, s64                              // 000000005FA4: D1ED0057 01024D27
	v_perm_b32 v88, v45, v44, s63                              // 000000005FAC: D1ED0058 00FE592D
	v_perm_b32 v89, v45, v44, s64                              // 000000005FB4: D1ED0059 0102592D
	v_perm_b32 v90, v47, v46, s63                              // 000000005FBC: D1ED005A 00FE5D2F
	v_perm_b32 v91, v47, v46, s64                              // 000000005FC4: D1ED005B 01025D2F
	v_mov_b32_dpp v127, v124 quad_perm:[3,3,3,3] row_mask:0xf bank_mask:0xf// 000000005FCC: 7EFE02FA FF00FF7C
	v_mov_b32_dpp v126, v124 quad_perm:[2,2,2,2] row_mask:0xf bank_mask:0xf// 000000005FD4: 7EFC02FA FF00AA7C
	v_mov_b32_dpp v125, v124 quad_perm:[1,1,1,1] row_mask:0xf bank_mask:0xf// 000000005FDC: 7EFA02FA FF00557C
	v_mov_b32_dpp v124, v124 quad_perm:[0,0,0,0] row_mask:0xf bank_mask:0xf// 000000005FE4: 7EF802FA FF00007C
	s_waitcnt vmcnt(9)                                         // 000000005FEC: BF8C0F79
	s_barrier                                                  // 000000005FF0: BF8A0000
	s_cmp_lt_i32 s46, 2                                        // 000000005FF4: BF04822E
	s_cbranch_scc0 label_0E9B                                  // 000000005FF8: BF840612

0000000000005ffc <label_087F>:
	s_waitcnt lgkmcnt(0)                                       // 000000005FFC: BF8CC07F
	s_barrier                                                  // 000000006000: BF8A0000
	v_mfma_f32_16x16x16_f16 v[48:51], a[144:145], a[0:1], 0    // 000000006004: D3CD0030 1A020190
	ds_write_b32 v11, v44 offset:8704                          // 00000000600C: D81A2200 00002C0B
	ds_write_b32 v11, v45 offset:9760                          // 000000006014: D81A2620 00002D0B
	v_mfma_f32_16x16x16_f16 v[48:51], a[146:147], a[2:3], v[48:51]// 00000000601C: D3CD0030 1CC20592
	v_mul_f32_e32 v128, s47, v128                              // 000000006024: 0B01002F
	v_mul_f32_e32 v129, s47, v129                              // 000000006028: 0B03022F
	v_mfma_f32_16x16x16_f16 v[48:51], a[148:149], a[4:5], v[48:51]// 00000000602C: D3CD0030 1CC20994
	ds_write_b32 v11, v46 offset:8832                          // 000000006034: D81A2280 00002E0B
	ds_write_b32 v11, v47 offset:9888                          // 00000000603C: D81A26A0 00002F0B
	v_mfma_f32_16x16x16_f16 v[48:51], a[150:151], a[6:7], v[48:51]// 000000006044: D3CD0030 1CC20D96
	v_mul_f32_e32 v130, s47, v130                              // 00000000604C: 0B05042F
	v_mul_f32_e32 v131, s47, v131                              // 000000006050: 0B07062F
	v_mfma_f32_16x16x16_f16 v[48:51], a[152:153], a[8:9], v[48:51]// 000000006054: D3CD0030 1CC21198
	ds_write_b64 v20, v[128:129] offset:24320                  // 00000000605C: D89A5F00 00008014
	v_mfma_f32_16x16x16_f16 v[48:51], a[154:155], a[10:11], v[48:51]// 000000006064: D3CD0030 1CC2159A
	v_mul_f32_e32 v132, s47, v132                              // 00000000606C: 0B09082F
	v_mul_f32_e32 v133, s47, v133                              // 000000006070: 0B0B0A2F
	v_mfma_f32_16x16x16_f16 v[48:51], a[156:157], a[12:13], v[48:51]// 000000006074: D3CD0030 1CC2199C
	ds_write_b64 v20, v[130:131] offset:24832                  // 00000000607C: D89A6100 00008214
	v_mfma_f32_16x16x16_f16 v[48:51], a[158:159], a[14:15], v[48:51]// 000000006084: D3CD0030 1CC21D9E
	v_mul_f32_e32 v134, s47, v134                              // 00000000608C: 0B0D0C2F
	v_mul_f32_e32 v135, s47, v135                              // 000000006090: 0B0F0E2F
	v_mfma_f32_16x16x16_f16 v[52:55], a[144:145], a[16:17], 0  // 000000006094: D3CD0034 1A022190
	ds_write_b64 v20, v[132:133] offset:25344                  // 00000000609C: D89A6300 00008414
	v_mfma_f32_16x16x16_f16 v[52:55], a[146:147], a[18:19], v[52:55]// 0000000060A4: D3CD0034 1CD22592
	buffer_atomic_add_f32 v140, v7, s[32:35], 0 offen offset:256// 0000000060AC: E1341100 80088C07
	v_mfma_f32_16x16x16_f16 v[52:55], a[148:149], a[20:21], v[52:55]// 0000000060B4: D3CD0034 1CD22994
	ds_write_b64 v20, v[134:135] offset:25856                  // 0000000060BC: D89A6500 00008614
	v_mfma_f32_16x16x16_f16 v[52:55], a[150:151], a[22:23], v[52:55]// 0000000060C4: D3CD0034 1CD22D96
	v_mfma_f32_16x16x16_f16 v[52:55], a[152:153], a[24:25], v[52:55]// 0000000060CC: D3CD0034 1CD23198
	ds_read_b128 v[108:111], v12 offset:13056                  // 0000000060D4: D9FE3300 6C00000C
	ds_write_b32 v11, v36                                      // 0000000060DC: D81A0000 0000240B
	v_mfma_f32_16x16x16_f16 v[52:55], a[154:155], a[26:27], v[52:55]// 0000000060E4: D3CD0034 1CD2359A
	buffer_atomic_add_f32 v141, v8, s[32:35], 0 offen offset:256// 0000000060EC: E1341100 80088D08
	v_mfma_f32_16x16x16_f16 v[52:55], a[156:157], a[28:29], v[52:55]// 0000000060F4: D3CD0034 1CD2399C
	v_mfma_f32_16x16x16_f16 v[52:55], a[158:159], a[30:31], v[52:55]// 0000000060FC: D3CD0034 1CD23D9E
	ds_read_b128 v[112:115], v12 offset:13568                  // 000000006104: D9FE3500 7000000C
	ds_write_b32 v11, v37 offset:1056                          // 00000000610C: D81A0420 0000250B
	v_mfma_f32_16x16x16_f16 v[56:59], a[144:145], a[32:33], 0  // 000000006114: D3CD0038 1A024190
	buffer_atomic_add_f32 v142, v7, s[32:35], 0 offen offset:384// 00000000611C: E1341180 80088E07
	v_mfma_f32_16x16x16_f16 v[56:59], a[146:147], a[34:35], v[56:59]// 000000006124: D3CD0038 1CE24592
	v_mfma_f32_16x16x16_f16 v[56:59], a[148:149], a[36:37], v[56:59]// 00000000612C: D3CD0038 1CE24994
	ds_read_b128 v[116:119], v12 offset:15232                  // 000000006134: D9FE3B80 7400000C
	ds_write_b32 v11, v38 offset:128                           // 00000000613C: D81A0080 0000260B
	v_mfma_f32_16x16x16_f16 v[56:59], a[150:151], a[38:39], v[56:59]// 000000006144: D3CD0038 1CE24D96
	v_mfma_f32_16x16x16_f16 v[56:59], a[152:153], a[40:41], v[56:59]// 00000000614C: D3CD0038 1CE25198
	buffer_atomic_add_f32 v143, v8, s[32:35], 0 offen offset:384// 000000006154: E1341180 80088F08
	v_mfma_f32_16x16x16_f16 v[56:59], a[154:155], a[42:43], v[56:59]// 00000000615C: D3CD0038 1CE2559A
	ds_read_b128 v[120:123], v12 offset:15744                  // 000000006164: D9FE3D80 7800000C
	ds_write_b32 v11, v39 offset:1184                          // 00000000616C: D81A04A0 0000270B
	v_mfma_f32_16x16x16_f16 v[56:59], a[156:157], a[44:45], v[56:59]// 000000006174: D3CD0038 1CE2599C
	v_mfma_f32_16x16x16_f16 v[56:59], a[158:159], a[46:47], v[56:59]// 00000000617C: D3CD0038 1CE25D9E
	s_cmp_lt_i32 s74, 12                                       // 000000006184: BF048C4A
	s_cbranch_scc0 label_0958                                  // 000000006188: BF840075
	s_mov_b32 s60, 0xffe0fffe                                  // 00000000618C: BEBC00FF FFE0FFFE
	s_mov_b32 s61, 0xe000fe00                                  // 000000006194: BEBD00FF E000FE00
	s_nop 0                                                    // 00000000619C: BF800000
	s_add_u32 s62, 0, s46                                      // 0000000061A0: 803E2E80
	s_cmp_lt_i32 s74, s62                                      // 0000000061A4: BF043E4A
	s_cbranch_scc1 label_0913                                  // 0000000061A8: BF850028
	s_cmp_eq_i32 s74, s62                                      // 0000000061AC: BF003E4A
	s_cbranch_scc1 label_08F8                                  // 0000000061B0: BF85000B
	s_add_u32 s62, 4, s46                                      // 0000000061B4: 803E2E84
	s_cmp_lt_i32 s74, s62                                      // 0000000061B8: BF043E4A
	s_cbranch_scc1 label_0933                                  // 0000000061BC: BF850043
	s_cmp_eq_i32 s74, s62                                      // 0000000061C0: BF003E4A
	s_cbranch_scc1 label_0918                                  // 0000000061C4: BF850026
	s_add_u32 s62, 8, s46                                      // 0000000061C8: 803E2E88
	s_cmp_lt_i32 s74, s62                                      // 0000000061CC: BF043E4A
	s_cbranch_scc1 label_0953                                  // 0000000061D0: BF85005E
	s_cmp_eq_i32 s74, s62                                      // 0000000061D4: BF003E4A
	s_cbranch_scc1 label_0938                                  // 0000000061D8: BF850041
	s_branch label_0958                                        // 0000000061DC: BF820060

00000000000061e0 <label_08F8>:
	v_cndmask_b32_e64 v48, v48, v151, s[60:61]                 // 0000000061E0: D1000030 00F32F30
	s_lshl_b32 s60, s60, 1                                     // 0000000061E8: 8E3C813C
	s_lshl_b32 s61, s61, 1                                     // 0000000061EC: 8E3D813D
	s_and_b32 s60, 0xfffeffff, s60                             // 0000000061F0: 863C3CFF FFFEFFFF
	s_and_b32 s61, 0xfffeffff, s61                             // 0000000061F8: 863D3DFF FFFEFFFF
	v_cndmask_b32_e64 v49, v49, v151, s[60:61]                 // 000000006200: D1000031 00F32F31
	s_lshl_b32 s60, s60, 1                                     // 000000006208: 8E3C813C
	s_lshl_b32 s61, s61, 1                                     // 00000000620C: 8E3D813D
	s_and_b32 s60, 0xfffeffff, s60                             // 000000006210: 863C3CFF FFFEFFFF
	s_and_b32 s61, 0xfffeffff, s61                             // 000000006218: 863D3DFF FFFEFFFF
	v_cndmask_b32_e64 v50, v50, v151, s[60:61]                 // 000000006220: D1000032 00F32F32
	s_lshl_b32 s60, s60, 1                                     // 000000006228: 8E3C813C
	s_lshl_b32 s61, s61, 1                                     // 00000000622C: 8E3D813D
	s_and_b32 s60, 0xfffeffff, s60                             // 000000006230: 863C3CFF FFFEFFFF
	s_and_b32 s61, 0xfffeffff, s61                             // 000000006238: 863D3DFF FFFEFFFF
	v_cndmask_b32_e64 v51, v51, v151, s[60:61]                 // 000000006240: D1000033 00F32F33
	s_branch label_0933                                        // 000000006248: BF820020

000000000000624c <label_0913>:
	v_mov_b32_e32 v48, v151                                    // 00000000624C: 7E600397
	v_mov_b32_e32 v49, v151                                    // 000000006250: 7E620397
	v_mov_b32_e32 v50, v151                                    // 000000006254: 7E640397
	v_mov_b32_e32 v51, v151                                    // 000000006258: 7E660397
	s_branch label_0933                                        // 00000000625C: BF82001B

0000000000006260 <label_0918>:
	v_cndmask_b32_e64 v52, v52, v151, s[60:61]                 // 000000006260: D1000034 00F32F34
	s_lshl_b32 s60, s60, 1                                     // 000000006268: 8E3C813C
	s_lshl_b32 s61, s61, 1                                     // 00000000626C: 8E3D813D
	s_and_b32 s60, 0xfffeffff, s60                             // 000000006270: 863C3CFF FFFEFFFF
	s_and_b32 s61, 0xfffeffff, s61                             // 000000006278: 863D3DFF FFFEFFFF
	v_cndmask_b32_e64 v53, v53, v151, s[60:61]                 // 000000006280: D1000035 00F32F35
	s_lshl_b32 s60, s60, 1                                     // 000000006288: 8E3C813C
	s_lshl_b32 s61, s61, 1                                     // 00000000628C: 8E3D813D
	s_and_b32 s60, 0xfffeffff, s60                             // 000000006290: 863C3CFF FFFEFFFF
	s_and_b32 s61, 0xfffeffff, s61                             // 000000006298: 863D3DFF FFFEFFFF
	v_cndmask_b32_e64 v54, v54, v151, s[60:61]                 // 0000000062A0: D1000036 00F32F36
	s_lshl_b32 s60, s60, 1                                     // 0000000062A8: 8E3C813C
	s_lshl_b32 s61, s61, 1                                     // 0000000062AC: 8E3D813D
	s_and_b32 s60, 0xfffeffff, s60                             // 0000000062B0: 863C3CFF FFFEFFFF
	s_and_b32 s61, 0xfffeffff, s61                             // 0000000062B8: 863D3DFF FFFEFFFF
	v_cndmask_b32_e64 v55, v55, v151, s[60:61]                 // 0000000062C0: D1000037 00F32F37
	s_branch label_0953                                        // 0000000062C8: BF820020

00000000000062cc <label_0933>:
	v_mov_b32_e32 v52, v151                                    // 0000000062CC: 7E680397
	v_mov_b32_e32 v53, v151                                    // 0000000062D0: 7E6A0397
	v_mov_b32_e32 v54, v151                                    // 0000000062D4: 7E6C0397
	v_mov_b32_e32 v55, v151                                    // 0000000062D8: 7E6E0397
	s_branch label_0953                                        // 0000000062DC: BF82001B

00000000000062e0 <label_0938>:
	v_cndmask_b32_e64 v56, v56, v151, s[60:61]                 // 0000000062E0: D1000038 00F32F38
	s_lshl_b32 s60, s60, 1                                     // 0000000062E8: 8E3C813C
	s_lshl_b32 s61, s61, 1                                     // 0000000062EC: 8E3D813D
	s_and_b32 s60, 0xfffeffff, s60                             // 0000000062F0: 863C3CFF FFFEFFFF
	s_and_b32 s61, 0xfffeffff, s61                             // 0000000062F8: 863D3DFF FFFEFFFF
	v_cndmask_b32_e64 v57, v57, v151, s[60:61]                 // 000000006300: D1000039 00F32F39
	s_lshl_b32 s60, s60, 1                                     // 000000006308: 8E3C813C
	s_lshl_b32 s61, s61, 1                                     // 00000000630C: 8E3D813D
	s_and_b32 s60, 0xfffeffff, s60                             // 000000006310: 863C3CFF FFFEFFFF
	s_and_b32 s61, 0xfffeffff, s61                             // 000000006318: 863D3DFF FFFEFFFF
	v_cndmask_b32_e64 v58, v58, v151, s[60:61]                 // 000000006320: D100003A 00F32F3A
	s_lshl_b32 s60, s60, 1                                     // 000000006328: 8E3C813C
	s_lshl_b32 s61, s61, 1                                     // 00000000632C: 8E3D813D
	s_and_b32 s60, 0xfffeffff, s60                             // 000000006330: 863C3CFF FFFEFFFF
	s_and_b32 s61, 0xfffeffff, s61                             // 000000006338: 863D3DFF FFFEFFFF
	v_cndmask_b32_e64 v59, v59, v151, s[60:61]                 // 000000006340: D100003B 00F32F3B
	s_branch label_0958                                        // 000000006348: BF820005

000000000000634c <label_0953>:
	v_mov_b32_e32 v56, v151                                    // 00000000634C: 7E700397
	v_mov_b32_e32 v57, v151                                    // 000000006350: 7E720397
	v_mov_b32_e32 v58, v151                                    // 000000006354: 7E740397
	v_mov_b32_e32 v59, v151                                    // 000000006358: 7E760397
	s_branch label_0958                                        // 00000000635C: BF820000

0000000000006360 <label_0958>:
	s_cmp_lt_i32 s84, 0xc0                                     // 000000006360: BF04FF54 000000C0
	s_cbranch_scc0 label_09AD                                  // 000000006368: BF84004D
	s_cmp_le_i32 s84, 64                                       // 00000000636C: BF05C054
	s_cbranch_scc1 label_0964                                  // 000000006370: BF850007
	s_cmp_le_i32 s84, 0x80                                     // 000000006374: BF05FF54 00000080
	s_cbranch_scc1 label_097C                                  // 00000000637C: BF850017
	s_cmp_lt_i32 s84, 0xc0                                     // 000000006380: BF04FF54 000000C0
	s_cbranch_scc1 label_0994                                  // 000000006388: BF85002C
	s_branch label_09AD                                        // 00000000638C: BF820044

0000000000006390 <label_0964>:
	s_mov_b32 s60, 0                                           // 000000006390: BEBC0080
	v_and_b32_e32 v28, 15, v0                                  // 000000006394: 2638008F
	v_add_u32_e64 v28, v28, s60                                // 000000006398: D134001C 0000791C
	v_mul_i32_i24_e64 v29, s46, 16                             // 0000000063A0: D106001D 0001202E
	v_add_u32_e32 v28, v28, v29                                // 0000000063A8: 68383B1C
	v_cmp_lt_u32_e64 s[60:61], v28, s84                        // 0000000063AC: D0C9003C 0000A91C
	s_nop 1                                                    // 0000000063B4: BF800001
	v_cndmask_b32_e64 v48, v151, v48, s[60:61]                 // 0000000063B8: D1000030 00F26197
	v_cndmask_b32_e64 v49, v151, v49, s[60:61]                 // 0000000063C0: D1000031 00F26397
	v_cndmask_b32_e64 v50, v151, v50, s[60:61]                 // 0000000063C8: D1000032 00F26597
	v_cndmask_b32_e64 v51, v151, v51, s[60:61]                 // 0000000063D0: D1000033 00F26797
	s_branch label_098F                                        // 0000000063D8: BF820013

00000000000063dc <label_097C>:
	s_mov_b32 s60, 64                                          // 0000000063DC: BEBC00C0
	v_and_b32_e32 v28, 15, v0                                  // 0000000063E0: 2638008F
	v_add_u32_e64 v28, v28, s60                                // 0000000063E4: D134001C 0000791C
	v_mul_i32_i24_e64 v29, s46, 16                             // 0000000063EC: D106001D 0001202E
	v_add_u32_e32 v28, v28, v29                                // 0000000063F4: 68383B1C
	v_cmp_lt_u32_e64 s[60:61], v28, s84                        // 0000000063F8: D0C9003C 0000A91C
	s_nop 1                                                    // 000000006400: BF800001
	v_cndmask_b32_e64 v52, v151, v52, s[60:61]                 // 000000006404: D1000034 00F26997
	v_cndmask_b32_e64 v53, v151, v53, s[60:61]                 // 00000000640C: D1000035 00F26B97
	v_cndmask_b32_e64 v54, v151, v54, s[60:61]                 // 000000006414: D1000036 00F26D97
	v_cndmask_b32_e64 v55, v151, v55, s[60:61]                 // 00000000641C: D1000037 00F26F97
	s_branch label_09A8                                        // 000000006424: BF820019

0000000000006428 <label_098F>:
	v_mov_b32_e32 v52, v151                                    // 000000006428: 7E680397
	v_mov_b32_e32 v53, v151                                    // 00000000642C: 7E6A0397
	v_mov_b32_e32 v54, v151                                    // 000000006430: 7E6C0397
	v_mov_b32_e32 v55, v151                                    // 000000006434: 7E6E0397
	s_branch label_09A8                                        // 000000006438: BF820014

000000000000643c <label_0994>:
	s_mov_b32 s60, 0x80                                        // 00000000643C: BEBC00FF 00000080
	v_and_b32_e32 v28, 15, v0                                  // 000000006444: 2638008F
	v_add_u32_e64 v28, v28, s60                                // 000000006448: D134001C 0000791C
	v_mul_i32_i24_e64 v29, s46, 16                             // 000000006450: D106001D 0001202E
	v_add_u32_e32 v28, v28, v29                                // 000000006458: 68383B1C
	v_cmp_lt_u32_e64 s[60:61], v28, s84                        // 00000000645C: D0C9003C 0000A91C
	s_nop 1                                                    // 000000006464: BF800001
	v_cndmask_b32_e64 v56, v151, v56, s[60:61]                 // 000000006468: D1000038 00F27197
	v_cndmask_b32_e64 v57, v151, v57, s[60:61]                 // 000000006470: D1000039 00F27397
	v_cndmask_b32_e64 v58, v151, v58, s[60:61]                 // 000000006478: D100003A 00F27597
	v_cndmask_b32_e64 v59, v151, v59, s[60:61]                 // 000000006480: D100003B 00F27797
	s_branch label_09AD                                        // 000000006488: BF820005

000000000000648c <label_09A8>:
	v_mov_b32_e32 v56, v151                                    // 00000000648C: 7E700397
	v_mov_b32_e32 v57, v151                                    // 000000006490: 7E720397
	v_mov_b32_e32 v58, v151                                    // 000000006494: 7E740397
	v_mov_b32_e32 v59, v151                                    // 000000006498: 7E760397
	s_branch label_09AD                                        // 00000000649C: BF820000

00000000000064a0 <label_09AD>:
	s_addk_i32 s74, 0x1                                        // 0000000064A0: B74A0001
	s_waitcnt lgkmcnt(8)                                       // 0000000064A4: BF8CC87F
	s_barrier                                                  // 0000000064A8: BF8A0000
	v_mfma_f32_16x16x16_f16 v[72:75], v[92:93], a[96:97], 0    // 0000000064AC: D3CD0048 1202C15C
	ds_read_b128 a[144:147], v12 offset:4352                   // 0000000064B4: DBFE1100 9000000C
	ds_read_b128 a[148:151], v12 offset:4864                   // 0000000064BC: DBFE1300 9400000C
	v_mfma_f32_16x16x16_f16 v[72:75], v[94:95], a[98:99], v[72:75]// 0000000064C4: D3CD0048 1522C55E
	v_fma_f32 v48, v48, s57, -v124                             // 0000000064CC: D1CB0030 85F07330
	v_fma_f32 v49, v49, s57, -v125                             // 0000000064D4: D1CB0031 85F47331
	v_fma_f32 v50, v50, s57, -v126                             // 0000000064DC: D1CB0032 85F87332
	v_mfma_f32_16x16x16_f16 v[72:75], v[96:97], a[100:101], v[72:75]// 0000000064E4: D3CD0048 1522C960
	v_fma_f32 v51, v51, s57, -v127                             // 0000000064EC: D1CB0033 85FC7333
	v_fma_f32 v52, v52, s57, -v124                             // 0000000064F4: D1CB0034 85F07334
	v_fma_f32 v53, v53, s57, -v125                             // 0000000064FC: D1CB0035 85F47335
	v_mfma_f32_16x16x16_f16 v[72:75], v[98:99], a[102:103], v[72:75]// 000000006504: D3CD0048 1522CD62
	v_fma_f32 v54, v54, s57, -v126                             // 00000000650C: D1CB0036 85F87336
	v_fma_f32 v55, v55, s57, -v127                             // 000000006514: D1CB0037 85FC7337
	v_fma_f32 v56, v56, s57, -v124                             // 00000000651C: D1CB0038 85F07338
	v_mfma_f32_16x16x16_f16 v[72:75], v[100:101], a[104:105], v[72:75]// 000000006524: D3CD0048 1522D164
	ds_read_b128 a[152:155], v12 offset:6528                   // 00000000652C: DBFE1980 9800000C
	ds_read_b128 a[156:159], v12 offset:7040                   // 000000006534: DBFE1B80 9C00000C
	v_mfma_f32_16x16x16_f16 v[72:75], v[102:103], a[106:107], v[72:75]// 00000000653C: D3CD0048 1522D566
	v_fma_f32 v57, v57, s57, -v125                             // 000000006544: D1CB0039 85F47339
	v_fma_f32 v58, v58, s57, -v126                             // 00000000654C: D1CB003A 85F8733A
	v_fma_f32 v59, v59, s57, -v127                             // 000000006554: D1CB003B 85FC733B
	v_mfma_f32_16x16x16_f16 v[72:75], v[104:105], a[108:109], v[72:75]// 00000000655C: D3CD0048 1522D968
	v_exp_f32_e32 v48, v48                                     // 000000006564: 7E604130
	v_mfma_f32_16x16x16_f16 v[72:75], v[106:107], a[110:111], v[72:75]// 000000006568: D3CD0048 1522DD6A
	v_exp_f32_e32 v49, v49                                     // 000000006570: 7E624131
	v_mfma_f32_16x16x16_f16 v[76:79], v[92:93], a[112:113], 0  // 000000006574: D3CD004C 1202E15C
	ds_read_b64 v[136:137], v19 offset:24320                   // 00000000657C: D8EC5F00 88000013
	ds_read_b64 v[138:139], v19 offset:26368                   // 000000006584: D8EC6700 8A000013
	v_mfma_f32_16x16x16_f16 v[76:79], v[94:95], a[114:115], v[76:79]// 00000000658C: D3CD004C 1532E55E
	v_exp_f32_e32 v50, v50                                     // 000000006594: 7E644132
	v_mfma_f32_16x16x16_f16 v[76:79], v[96:97], a[116:117], v[76:79]// 000000006598: D3CD004C 1532E960
	ds_read_b64 v[140:141], v19 offset:28416                   // 0000000065A0: D8EC6F00 8C000013
	ds_read_b64 v[142:143], v19 offset:30464                   // 0000000065A8: D8EC7700 8E000013
	v_mfma_f32_16x16x16_f16 v[76:79], v[98:99], a[118:119], v[76:79]// 0000000065B0: D3CD004C 1532ED62
	v_exp_f32_e32 v51, v51                                     // 0000000065B8: 7E664133
	v_mfma_f32_16x16x16_f16 v[76:79], v[100:101], a[120:121], v[76:79]// 0000000065BC: D3CD004C 1532F164
	v_exp_f32_e32 v52, v52                                     // 0000000065C4: 7E684134
	v_mfma_f32_16x16x16_f16 v[76:79], v[102:103], a[122:123], v[76:79]// 0000000065C8: D3CD004C 1532F566
	v_exp_f32_e32 v53, v53                                     // 0000000065D0: 7E6A4135
	v_mfma_f32_16x16x16_f16 v[76:79], v[104:105], a[124:125], v[76:79]// 0000000065D4: D3CD004C 1532F968
	v_exp_f32_e32 v54, v54                                     // 0000000065DC: 7E6C4136
	v_mfma_f32_16x16x16_f16 v[76:79], v[106:107], a[126:127], v[76:79]// 0000000065E0: D3CD004C 1532FD6A
	v_exp_f32_e32 v55, v55                                     // 0000000065E8: 7E6E4137
	v_mfma_f32_16x16x16_f16 v[80:83], v[92:93], a[128:129], 0  // 0000000065EC: D3CD0050 1203015C
	v_exp_f32_e32 v56, v56                                     // 0000000065F4: 7E704138
	v_mfma_f32_16x16x16_f16 v[80:83], v[94:95], a[130:131], v[80:83]// 0000000065F8: D3CD0050 1543055E
	v_exp_f32_e32 v57, v57                                     // 000000006600: 7E724139
	v_mfma_f32_16x16x16_f16 v[80:83], v[96:97], a[132:133], v[80:83]// 000000006604: D3CD0050 15430960
	v_exp_f32_e32 v58, v58                                     // 00000000660C: 7E74413A
	v_mfma_f32_16x16x16_f16 v[80:83], v[98:99], a[134:135], v[80:83]// 000000006610: D3CD0050 15430D62
	v_exp_f32_e32 v59, v59                                     // 000000006618: 7E76413B
	v_mfma_f32_16x16x16_f16 v[80:83], v[100:101], a[136:137], v[80:83]// 00000000661C: D3CD0050 15431164
	v_cvt_pkrtz_f16_f32 v144, v48, v49                         // 000000006624: D2960090 00026330
	v_cvt_pkrtz_f16_f32 v145, v50, v51                         // 00000000662C: D2960091 00026732
	v_cvt_pkrtz_f16_f32 v146, v52, v53                         // 000000006634: D2960092 00026B34
	v_mfma_f32_16x16x16_f16 v[80:83], v[102:103], a[138:139], v[80:83]// 00000000663C: D3CD0050 15431566
	v_cvt_pkrtz_f16_f32 v147, v54, v55                         // 000000006644: D2960093 00026F36
	v_cvt_pkrtz_f16_f32 v148, v56, v57                         // 00000000664C: D2960094 00027338
	v_cvt_pkrtz_f16_f32 v149, v58, v59                         // 000000006654: D2960095 0002773A
	v_mfma_f32_16x16x16_f16 v[80:83], v[104:105], a[140:141], v[80:83]// 00000000665C: D3CD0050 15431968
	v_add_u32_e32 v7, s66, v7                                  // 000000006664: 680E0E42
	v_add_u32_e32 v8, s66, v8                                  // 000000006668: 68101042
	v_mfma_f32_16x16x16_f16 v[80:83], v[106:107], a[142:143], v[80:83]// 00000000666C: D3CD0050 15431D6A
	s_waitcnt lgkmcnt(0)                                       // 000000006674: BF8CC07F
	s_barrier                                                  // 000000006678: BF8A0000
	v_mfma_f32_16x16x16_f16 v[152:155], v[108:109], v[144:145], v[152:155]// 00000000667C: D3CD0098 0663216C
	v_subrev_f32_dpp v72, v150, v72 quad_perm:[0,0,0,0] row_mask:0xf bank_mask:0xf// 000000006684: 069090FA FF000096
	v_subrev_f32_dpp v73, v150, v73 quad_perm:[1,1,1,1] row_mask:0xf bank_mask:0xf// 00000000668C: 069292FA FF005596
	v_subrev_f32_dpp v74, v150, v74 quad_perm:[2,2,2,2] row_mask:0xf bank_mask:0xf// 000000006694: 069494FA FF00AA96
	v_mfma_f32_16x16x16_f16 v[156:159], v[110:111], v[144:145], v[156:159]// 00000000669C: D3CD009C 0673216E
	v_subrev_f32_dpp v75, v150, v75 quad_perm:[3,3,3,3] row_mask:0xf bank_mask:0xf// 0000000066A4: 069696FA FF00FF96
	v_subrev_f32_dpp v76, v150, v76 quad_perm:[0,0,0,0] row_mask:0xf bank_mask:0xf// 0000000066AC: 069898FA FF000096
	v_subrev_f32_dpp v77, v150, v77 quad_perm:[1,1,1,1] row_mask:0xf bank_mask:0xf// 0000000066B4: 069A9AFA FF005596
	v_mfma_f32_16x16x16_f16 v[160:163], v[112:113], v[144:145], v[160:163]// 0000000066BC: D3CD00A0 06832170
	v_mul_f32_e32 v72, v48, v72                                // 0000000066C4: 0A909130
	v_mul_f32_e32 v73, v49, v73                                // 0000000066C8: 0A929331
	v_mul_f32_e32 v74, v50, v74                                // 0000000066CC: 0A949532
	v_mfma_f32_16x16x16_f16 v[164:167], v[114:115], v[144:145], v[164:167]// 0000000066D0: D3CD00A4 06932172
	v_mul_f32_e32 v75, v51, v75                                // 0000000066D8: 0A969733
	v_mul_f32_e32 v76, v52, v76                                // 0000000066DC: 0A989934
	v_mul_f32_e32 v77, v53, v77                                // 0000000066E0: 0A9A9B35
	v_mfma_f32_16x16x16_f16 v[168:171], v[116:117], v[144:145], v[168:171]// 0000000066E4: D3CD00A8 06A32174
	v_cvt_pkrtz_f16_f32 v72, v72, v73                          // 0000000066EC: D2960048 00029348
	v_cvt_pkrtz_f16_f32 v73, v74, v75                          // 0000000066F4: D2960049 0002974A
	v_cvt_pkrtz_f16_f32 v74, v76, v77                          // 0000000066FC: D296004A 00029B4C
	v_mfma_f32_16x16x16_f16 v[172:175], v[118:119], v[144:145], v[172:175]// 000000006704: D3CD00AC 06B32176
	v_mov_b32_dpp v16, v72 quad_perm:[1,0,3,2] row_mask:0xf bank_mask:0xf// 00000000670C: 7E2002FA FF00B148
	v_perm_b32 v48, v16, v72, v15                              // 000000006714: D1ED0030 043E9110
	v_mov_b32_dpp v16, v73 quad_perm:[1,0,3,2] row_mask:0xf bank_mask:0xf// 00000000671C: 7E2002FA FF00B149
	v_mfma_f32_16x16x16_f16 v[176:179], v[120:121], v[144:145], v[176:179]// 000000006724: D3CD00B0 06C32178
	v_perm_b32 v49, v16, v73, v15                              // 00000000672C: D1ED0031 043E9310
	v_mov_b32_dpp v16, v74 quad_perm:[1,0,3,2] row_mask:0xf bank_mask:0xf// 000000006734: 7E2002FA FF00B14A
	v_perm_b32 v50, v16, v74, v15                              // 00000000673C: D1ED0032 043E9510
	v_mfma_f32_16x16x16_f16 v[180:183], v[122:123], v[144:145], v[180:183]// 000000006744: D3CD00B4 06D3217A
	ds_write_b32 v18, v48 offset:17408                         // 00000000674C: D81A4400 00003012
	v_mfma_f32_16x16x16_f16 v[184:187], v[108:109], v[146:147], v[184:187]// 000000006754: D3CD00B8 06E3256C
	v_subrev_f32_dpp v78, v150, v78 quad_perm:[2,2,2,2] row_mask:0xf bank_mask:0xf// 00000000675C: 069C9CFA FF00AA96
	v_subrev_f32_dpp v79, v150, v79 quad_perm:[3,3,3,3] row_mask:0xf bank_mask:0xf// 000000006764: 069E9EFA FF00FF96
	v_subrev_f32_dpp v80, v150, v80 quad_perm:[0,0,0,0] row_mask:0xf bank_mask:0xf// 00000000676C: 06A0A0FA FF000096
	v_mfma_f32_16x16x16_f16 v[188:191], v[110:111], v[146:147], v[188:191]// 000000006774: D3CD00BC 06F3256E
	ds_write_b32 v18, v49 offset:17952                         // 00000000677C: D81A4620 00003112
	v_mfma_f32_16x16x16_f16 v[192:195], v[112:113], v[146:147], v[192:195]// 000000006784: D3CD00C0 07032570
	v_subrev_f32_dpp v81, v150, v81 quad_perm:[1,1,1,1] row_mask:0xf bank_mask:0xf// 00000000678C: 06A2A2FA FF005596
	v_subrev_f32_dpp v82, v150, v82 quad_perm:[2,2,2,2] row_mask:0xf bank_mask:0xf// 000000006794: 06A4A4FA FF00AA96
	v_subrev_f32_dpp v83, v150, v83 quad_perm:[3,3,3,3] row_mask:0xf bank_mask:0xf// 00000000679C: 06A6A6FA FF00FF96
	v_mfma_f32_16x16x16_f16 v[196:199], v[114:115], v[146:147], v[196:199]// 0000000067A4: D3CD00C4 07132572
	ds_write_b32 v18, v50 offset:19712                         // 0000000067AC: D81A4D00 00003212
	v_mfma_f32_16x16x16_f16 v[200:203], v[116:117], v[146:147], v[200:203]// 0000000067B4: D3CD00C8 07232574
	v_mul_f32_e32 v78, v54, v78                                // 0000000067BC: 0A9C9D36
	v_mul_f32_e32 v79, v55, v79                                // 0000000067C0: 0A9E9F37
	v_mul_f32_e32 v80, v56, v80                                // 0000000067C4: 0AA0A138
	v_mfma_f32_16x16x16_f16 v[204:207], v[118:119], v[146:147], v[204:207]// 0000000067C8: D3CD00CC 07332576
	v_mul_f32_e32 v81, v57, v81                                // 0000000067D0: 0AA2A339
	v_mul_f32_e32 v82, v58, v82                                // 0000000067D4: 0AA4A53A
	v_mul_f32_e32 v83, v59, v83                                // 0000000067D8: 0AA6A73B
	v_mfma_f32_16x16x16_f16 v[208:211], v[120:121], v[146:147], v[208:211]// 0000000067DC: D3CD00D0 07432578
	v_cvt_pkrtz_f16_f32 v75, v78, v79                          // 0000000067E4: D296004B 00029F4E
	v_cvt_pkrtz_f16_f32 v76, v80, v81                          // 0000000067EC: D296004C 0002A350
	v_cvt_pkrtz_f16_f32 v77, v82, v83                          // 0000000067F4: D296004D 0002A752
	v_mfma_f32_16x16x16_f16 v[212:215], v[122:123], v[146:147], v[212:215]// 0000000067FC: D3CD00D4 0753257A
	v_mov_b32_dpp v16, v75 quad_perm:[1,0,3,2] row_mask:0xf bank_mask:0xf// 000000006804: 7E2002FA FF00B14B
	v_perm_b32 v51, v16, v75, v15                              // 00000000680C: D1ED0033 043E9710
	v_mov_b32_dpp v16, v76 quad_perm:[1,0,3,2] row_mask:0xf bank_mask:0xf// 000000006814: 7E2002FA FF00B14C
	v_mfma_f32_16x16x16_f16 v[216:219], v[108:109], v[148:149], v[216:219]// 00000000681C: D3CD00D8 0763296C
	v_perm_b32 v52, v16, v76, v15                              // 000000006824: D1ED0034 043E9910
	v_mov_b32_dpp v16, v77 quad_perm:[1,0,3,2] row_mask:0xf bank_mask:0xf// 00000000682C: 7E2002FA FF00B14D
	v_perm_b32 v53, v16, v77, v15                              // 000000006834: D1ED0035 043E9B10
	v_mfma_f32_16x16x16_f16 v[220:223], v[110:111], v[148:149], v[220:223]// 00000000683C: D3CD00DC 0773296E
	ds_write_b32 v18, v51 offset:20256                         // 000000006844: D81A4F20 00003312
	v_mfma_f32_16x16x16_f16 v[224:227], v[112:113], v[148:149], v[224:227]// 00000000684C: D3CD00E0 07832970
	v_mfma_f32_16x16x16_f16 v[228:231], v[114:115], v[148:149], v[228:231]// 000000006854: D3CD00E4 07932972
	ds_write_b32 v18, v52 offset:22016                         // 00000000685C: D81A5600 00003412
	ds_write_b32 v18, v53 offset:22560                         // 000000006864: D81A5820 00003512
	v_mfma_f32_16x16x16_f16 v[232:235], v[116:117], v[148:149], v[232:235]// 00000000686C: D3CD00E8 07A32974
	v_mfma_f32_16x16x16_f16 v[236:239], v[118:119], v[148:149], v[236:239]// 000000006874: D3CD00EC 07B32976
	ds_write_b32 v13, v84 offset:4352                          // 00000000687C: D81A1100 0000540D
	ds_write_b32 v13, v85 offset:5408                          // 000000006884: D81A1520 0000550D
	v_mfma_f32_16x16x16_f16 v[240:243], v[120:121], v[148:149], v[240:243]// 00000000688C: D3CD00F0 07C32978
	s_nop 0                                                    // 000000006894: BF800000
	s_nop 0                                                    // 000000006898: BF800000
	s_nop 0                                                    // 00000000689C: BF800000
	v_mfma_f32_16x16x16_f16 v[244:247], v[122:123], v[148:149], v[244:247]// 0000000068A0: D3CD00F4 07D3297A
	ds_write_b32 v13, v86 offset:4480                          // 0000000068A8: D81A1180 0000560D
	ds_write_b32 v13, v87 offset:5536                          // 0000000068B0: D81A15A0 0000570D
	s_barrier                                                  // 0000000068B8: BF8A0000
	v_mfma_f32_16x16x16_f16 a[160:163], a[144:145], v[72:73], a[160:163]// 0000000068BC: D3CD80A0 0E829190
	buffer_atomic_add_f32 v136, v7, s[32:35], 0 offen          // 0000000068C4: E1341000 80088807
	v_mfma_f32_16x16x16_f16 a[164:167], a[146:147], v[72:73], a[164:167]// 0000000068CC: D3CD80A4 0E929192
	ds_read_b32 v124, v21 offset:51200                         // 0000000068D4: D86CC800 7C000015
	ds_read_b32 v150, v21 offset:51456                         // 0000000068DC: D86CC900 96000015
	v_mfma_f32_16x16x16_f16 a[168:171], a[148:149], v[72:73], a[168:171]// 0000000068E4: D3CD80A8 0EA29194
	s_waitcnt lgkmcnt(6)                                       // 0000000068EC: BF8CC67F
	s_barrier                                                  // 0000000068F0: BF8A0000
	v_mfma_f32_16x16x16_f16 a[172:175], a[150:151], v[72:73], a[172:175]// 0000000068F4: D3CD80AC 0EB29196
	ds_read_b128 v[48:51], v17 offset:17408                    // 0000000068FC: D9FE4400 30000011
	v_mfma_f32_16x16x16_f16 a[176:179], a[152:153], v[72:73], a[176:179]// 000000006904: D3CD80B0 0EC29198
	v_mfma_f32_16x16x16_f16 a[180:183], a[154:155], v[72:73], a[180:183]// 00000000690C: D3CD80B4 0ED2919A
	ds_read_b128 v[52:55], v17 offset:18560                    // 000000006914: D9FE4880 34000011
	v_mfma_f32_16x16x16_f16 a[184:187], a[156:157], v[72:73], a[184:187]// 00000000691C: D3CD80B8 0EE2919C
	buffer_atomic_add_f32 v137, v8, s[32:35], 0 offen          // 000000006924: E1341000 80088908
	v_mfma_f32_16x16x16_f16 a[188:191], a[158:159], v[72:73], a[188:191]// 00000000692C: D3CD80BC 0EF2919E
	ds_read_b128 v[56:59], v17 offset:19712                    // 000000006934: D9FE4D00 38000011
	v_mfma_f32_16x16x16_f16 a[192:195], a[144:145], v[74:75], a[192:195]// 00000000693C: D3CD80C0 0F029590
	v_mfma_f32_16x16x16_f16 a[196:199], a[146:147], v[74:75], a[196:199]// 000000006944: D3CD80C4 0F129592
	ds_read_b128 v[60:63], v17 offset:20864                    // 00000000694C: D9FE5180 3C000011
	v_mfma_f32_16x16x16_f16 a[200:203], a[148:149], v[74:75], a[200:203]// 000000006954: D3CD80C8 0F229594
	v_mfma_f32_16x16x16_f16 a[204:207], a[150:151], v[74:75], a[204:207]// 00000000695C: D3CD80CC 0F329596
	ds_read_b128 v[64:67], v17 offset:22016                    // 000000006964: D9FE5600 40000011
	v_mfma_f32_16x16x16_f16 a[208:211], a[152:153], v[74:75], a[208:211]// 00000000696C: D3CD80D0 0F429598
	buffer_atomic_add_f32 v138, v7, s[32:35], 0 offen offset:128// 000000006974: E1341080 80088A07
	v_mfma_f32_16x16x16_f16 a[212:215], a[154:155], v[74:75], a[212:215]// 00000000697C: D3CD80D4 0F52959A
	ds_read_b128 v[68:71], v17 offset:23168                    // 000000006984: D9FE5A80 44000011
	v_mfma_f32_16x16x16_f16 a[216:219], a[156:157], v[74:75], a[216:219]// 00000000698C: D3CD80D8 0F62959C
	v_mfma_f32_16x16x16_f16 a[220:223], a[158:159], v[74:75], a[220:223]// 000000006994: D3CD80DC 0F72959E
	ds_write_b32 v13, v88 offset:13056                         // 00000000699C: D81A3300 0000580D
	v_mfma_f32_16x16x16_f16 a[224:227], a[144:145], v[76:77], a[224:227]// 0000000069A4: D3CD80E0 0F829990
	v_mfma_f32_16x16x16_f16 a[228:231], a[146:147], v[76:77], a[228:231]// 0000000069AC: D3CD80E4 0F929992
	ds_write_b32 v13, v89 offset:14112                         // 0000000069B4: D81A3720 0000590D
	v_mfma_f32_16x16x16_f16 a[232:235], a[148:149], v[76:77], a[232:235]// 0000000069BC: D3CD80E8 0FA29994
	buffer_atomic_add_f32 v139, v8, s[32:35], 0 offen offset:128// 0000000069C4: E1341080 80088B08
	v_mfma_f32_16x16x16_f16 a[236:239], a[150:151], v[76:77], a[236:239]// 0000000069CC: D3CD80EC 0FB29996
	ds_write_b32 v13, v90 offset:13184                         // 0000000069D4: D81A3380 00005A0D
	v_mfma_f32_16x16x16_f16 a[240:243], a[152:153], v[76:77], a[240:243]// 0000000069DC: D3CD80F0 0FC29998
	v_mfma_f32_16x16x16_f16 a[244:247], a[154:155], v[76:77], a[244:247]// 0000000069E4: D3CD80F4 0FD2999A
	ds_write_b32 v13, v91 offset:14240                         // 0000000069EC: D81A37A0 00005B0D
	v_mfma_f32_16x16x16_f16 a[248:251], a[156:157], v[76:77], a[248:251]// 0000000069F4: D3CD80F8 0FE2999C
	v_mfma_f32_16x16x16_f16 a[252:255], a[158:159], v[76:77], a[252:255]// 0000000069FC: D3CD80FC 0FF2999E
	s_waitcnt vmcnt(8) lgkmcnt(4)                              // 000000006A04: BF8C0478
	s_barrier                                                  // 000000006A08: BF8A0000
	v_mfma_f32_16x16x16_f16 v[128:131], v[48:49], a[48:49], 0  // 000000006A0C: D3CD0080 12026130
	v_mul_f32_e32 v124, s48, v124                              // 000000006A14: 0AF8F830
	s_nop 0                                                    // 000000006A18: BF800000
	v_mfma_f32_16x16x16_f16 v[128:131], v[50:51], a[52:53], v[128:131]// 000000006A1C: D3CD0080 16026932
	ds_read_b128 a[144:147], v10                               // 000000006A24: DBFE0000 9000000A
	buffer_load_dword v36, v1, s[8:11], 0 idxen                // 000000006A2C: E0502000 80022401
	v_mfma_f32_16x16x16_f16 v[128:131], v[52:53], a[56:57], v[128:131]// 000000006A34: D3CD0080 16027134
	v_mfma_f32_16x16x16_f16 v[128:131], v[54:55], a[60:61], v[128:131]// 000000006A3C: D3CD0080 16027936
	ds_read_b128 a[148:151], v10 offset:512                    // 000000006A44: DBFE0200 9400000A
	buffer_load_dword v37, v2, s[8:11], 0 idxen                // 000000006A4C: E0502000 80022502
	v_mfma_f32_16x16x16_f16 v[128:131], v[56:57], a[64:65], v[128:131]// 000000006A54: D3CD0080 16028138
	v_perm_b32 v84, v33, v32, s63                              // 000000006A5C: D1ED0054 00FE4121
	v_perm_b32 v85, v33, v32, s64                              // 000000006A64: D1ED0055 01024121
	v_mfma_f32_16x16x16_f16 v[128:131], v[58:59], a[68:69], v[128:131]// 000000006A6C: D3CD0080 1602893A
	ds_read_b128 a[152:155], v10 offset:2176                   // 000000006A74: DBFE0880 9800000A
	buffer_load_dword v38, v3, s[8:11], 0 idxen                // 000000006A7C: E0502000 80022603
	v_mfma_f32_16x16x16_f16 v[128:131], v[60:61], a[72:73], v[128:131]// 000000006A84: D3CD0080 1602913C
	v_perm_b32 v86, v35, v34, s63                              // 000000006A8C: D1ED0056 00FE4523
	v_perm_b32 v87, v35, v34, s64                              // 000000006A94: D1ED0057 01024523
	v_mfma_f32_16x16x16_f16 v[128:131], v[62:63], a[76:77], v[128:131]// 000000006A9C: D3CD0080 1602993E
	ds_read_b128 a[156:159], v10 offset:2688                   // 000000006AA4: DBFE0A80 9C00000A
	buffer_load_dword v39, v4, s[8:11], 0 idxen                // 000000006AAC: E0502000 80022704
	v_mfma_f32_16x16x16_f16 v[128:131], v[64:65], a[80:81], v[128:131]// 000000006AB4: D3CD0080 1602A140
	v_perm_b32 v88, v41, v40, s63                              // 000000006ABC: D1ED0058 00FE5129
	v_perm_b32 v89, v41, v40, s64                              // 000000006AC4: D1ED0059 01025129
	v_mfma_f32_16x16x16_f16 v[128:131], v[66:67], a[84:85], v[128:131]// 000000006ACC: D3CD0080 1602A942
	ds_read_b128 v[92:95], v10 offset:8704                     // 000000006AD4: D9FE2200 5C00000A
	buffer_load_dword v44, v248, s[20:23], 0 idxen             // 000000006ADC: E0502000 80052CF8
	v_mfma_f32_16x16x16_f16 v[128:131], v[68:69], a[88:89], v[128:131]// 000000006AE4: D3CD0080 1602B144
	v_perm_b32 v90, v43, v42, s63                              // 000000006AEC: D1ED005A 00FE552B
	v_perm_b32 v91, v43, v42, s64                              // 000000006AF4: D1ED005B 0102552B
	v_mfma_f32_16x16x16_f16 v[128:131], v[70:71], a[92:93], v[128:131]// 000000006AFC: D3CD0080 1602B946
	ds_read_b128 v[96:99], v10 offset:9216                     // 000000006B04: D9FE2400 6000000A
	buffer_load_dword v45, v249, s[20:23], 0 idxen             // 000000006B0C: E0502000 80052DF9
	v_mfma_f32_16x16x16_f16 v[132:135], v[48:49], a[50:51], 0  // 000000006B14: D3CD0084 12026530
	v_mov_b32_dpp v127, v124 quad_perm:[3,3,3,3] row_mask:0xf bank_mask:0xf// 000000006B1C: 7EFE02FA FF00FF7C
	v_mov_b32_dpp v126, v124 quad_perm:[2,2,2,2] row_mask:0xf bank_mask:0xf// 000000006B24: 7EFC02FA FF00AA7C
	v_mfma_f32_16x16x16_f16 v[132:135], v[50:51], a[54:55], v[132:135]// 000000006B2C: D3CD0084 16126D32
	ds_read_b128 v[100:103], v10 offset:10880                  // 000000006B34: D9FE2A80 6400000A
	buffer_load_dword v46, v250, s[20:23], 0 idxen             // 000000006B3C: E0502000 80052EFA
	v_mfma_f32_16x16x16_f16 v[132:135], v[52:53], a[58:59], v[132:135]// 000000006B44: D3CD0084 16127534
	v_mov_b32_dpp v125, v124 quad_perm:[1,1,1,1] row_mask:0xf bank_mask:0xf// 000000006B4C: 7EFA02FA FF00557C
	v_mov_b32_dpp v124, v124 quad_perm:[0,0,0,0] row_mask:0xf bank_mask:0xf// 000000006B54: 7EF802FA FF00007C
	s_add_u32 s60, 64, s59                                     // 000000006B5C: 803C3BC0
	v_mfma_f32_16x16x16_f16 v[132:135], v[54:55], a[62:63], v[132:135]// 000000006B60: D3CD0084 16127D36
	ds_read_b128 v[104:107], v10 offset:11392                  // 000000006B68: D9FE2C80 6800000A
	buffer_load_dword v47, v251, s[20:23], 0 idxen             // 000000006B70: E0502000 80052FFB
	v_mfma_f32_16x16x16_f16 v[132:135], v[56:57], a[66:67], v[132:135]// 000000006B78: D3CD0084 16128538
	s_cmp_lt_u32 s60, s58                                      // 000000006B80: BF0A3A3C
	s_cselect_b32 s68, s68, 0                                  // 000000006B84: 85448044
	s_cselect_b32 s100, s100, 0                                // 000000006B88: 85648064
	s_cselect_b32 s69, s69, 0                                  // 000000006B8C: 85458045
	v_mfma_f32_16x16x16_f16 v[132:135], v[58:59], a[70:71], v[132:135]// 000000006B90: D3CD0084 16128D3A
	buffer_load_dword v9, s[24:27], 0 idxen lds                // 000000006B98: E0512000 80060009
	v_mfma_f32_16x16x16_f16 v[132:135], v[60:61], a[74:75], v[132:135]// 000000006BA0: D3CD0084 1612953C
	v_add_u32_e32 v1, s68, v1                                  // 000000006BA8: 68020244
	v_add_u32_e32 v2, s68, v2                                  // 000000006BAC: 68040444
	v_add_u32_e32 v3, s68, v3                                  // 000000006BB0: 68060644
	v_add_u32_e32 v4, s68, v4                                  // 000000006BB4: 68080844
	v_mfma_f32_16x16x16_f16 v[132:135], v[62:63], a[78:79], v[132:135]// 000000006BB8: D3CD0084 16129D3E
	v_add_u32_e32 v248, s100, v248                             // 000000006BC0: 69F1F064
	v_add_u32_e32 v249, s100, v249                             // 000000006BC4: 69F3F264
	v_add_u32_e32 v250, s100, v250                             // 000000006BC8: 69F5F464
	v_add_u32_e32 v251, s100, v251                             // 000000006BCC: 69F7F664
	v_mfma_f32_16x16x16_f16 v[132:135], v[64:65], a[82:83], v[132:135]// 000000006BD0: D3CD0084 1612A540
	s_mov_b32 m0, s78                                          // 000000006BD8: BEFC004E
	v_add_u32_e32 v9, s69, v9                                  // 000000006BDC: 68121245
	v_mfma_f32_16x16x16_f16 v[132:135], v[66:67], a[86:87], v[132:135]// 000000006BE0: D3CD0084 1612AD42
	s_cmp_ge_u32 s59, s73                                      // 000000006BE8: BF09493B
	s_cselect_b32 s66, s67, s66                                // 000000006BEC: 85424243
	v_mfma_f32_16x16x16_f16 v[132:135], v[68:69], a[90:91], v[132:135]// 000000006BF0: D3CD0084 1612B544
	s_addk_i32 s59, 0x10                                       // 000000006BF8: B73B0010
	s_nop 0                                                    // 000000006BFC: BF800000
	s_cmp_lt_i32 s59, s58                                      // 000000006C00: BF043A3B
	v_mfma_f32_16x16x16_f16 v[132:135], v[70:71], a[94:95], v[132:135]// 000000006C04: D3CD0084 1612BD46
	s_cbranch_scc0 label_0E94                                  // 000000006C0C: BF840306
	s_waitcnt lgkmcnt(0)                                       // 000000006C10: BF8CC07F
	s_barrier                                                  // 000000006C14: BF8A0000
	v_mfma_f32_16x16x16_f16 v[48:51], a[144:145], a[0:1], 0    // 000000006C18: D3CD0030 1A020190
	ds_write_b32 v11, v40 offset:8704                          // 000000006C20: D81A2200 0000280B
	ds_write_b32 v11, v41 offset:9760                          // 000000006C28: D81A2620 0000290B
	v_mfma_f32_16x16x16_f16 v[48:51], a[146:147], a[2:3], v[48:51]// 000000006C30: D3CD0030 1CC20592
	v_mul_f32_e32 v128, s47, v128                              // 000000006C38: 0B01002F
	v_mul_f32_e32 v129, s47, v129                              // 000000006C3C: 0B03022F
	v_mfma_f32_16x16x16_f16 v[48:51], a[148:149], a[4:5], v[48:51]// 000000006C40: D3CD0030 1CC20994
	ds_write_b32 v11, v42 offset:8832                          // 000000006C48: D81A2280 00002A0B
	ds_write_b32 v11, v43 offset:9888                          // 000000006C50: D81A26A0 00002B0B
	v_mfma_f32_16x16x16_f16 v[48:51], a[150:151], a[6:7], v[48:51]// 000000006C58: D3CD0030 1CC20D96
	v_mul_f32_e32 v130, s47, v130                              // 000000006C60: 0B05042F
	v_mul_f32_e32 v131, s47, v131                              // 000000006C64: 0B07062F
	v_mfma_f32_16x16x16_f16 v[48:51], a[152:153], a[8:9], v[48:51]// 000000006C68: D3CD0030 1CC21198
	ds_write_b64 v20, v[128:129] offset:24320                  // 000000006C70: D89A5F00 00008014
	v_mfma_f32_16x16x16_f16 v[48:51], a[154:155], a[10:11], v[48:51]// 000000006C78: D3CD0030 1CC2159A
	v_mul_f32_e32 v132, s47, v132                              // 000000006C80: 0B09082F
	v_mul_f32_e32 v133, s47, v133                              // 000000006C84: 0B0B0A2F
	v_mfma_f32_16x16x16_f16 v[48:51], a[156:157], a[12:13], v[48:51]// 000000006C88: D3CD0030 1CC2199C
	ds_write_b64 v20, v[130:131] offset:24832                  // 000000006C90: D89A6100 00008214
	v_mfma_f32_16x16x16_f16 v[48:51], a[158:159], a[14:15], v[48:51]// 000000006C98: D3CD0030 1CC21D9E
	v_mul_f32_e32 v134, s47, v134                              // 000000006CA0: 0B0D0C2F
	v_mul_f32_e32 v135, s47, v135                              // 000000006CA4: 0B0F0E2F
	v_mfma_f32_16x16x16_f16 v[52:55], a[144:145], a[16:17], 0  // 000000006CA8: D3CD0034 1A022190
	ds_write_b64 v20, v[132:133] offset:25344                  // 000000006CB0: D89A6300 00008414
	v_mfma_f32_16x16x16_f16 v[52:55], a[146:147], a[18:19], v[52:55]// 000000006CB8: D3CD0034 1CD22592
	buffer_atomic_add_f32 v140, v7, s[32:35], 0 offen offset:256// 000000006CC0: E1341100 80088C07
	v_mfma_f32_16x16x16_f16 v[52:55], a[148:149], a[20:21], v[52:55]// 000000006CC8: D3CD0034 1CD22994
	ds_write_b64 v20, v[134:135] offset:25856                  // 000000006CD0: D89A6500 00008614
	v_mfma_f32_16x16x16_f16 v[52:55], a[150:151], a[22:23], v[52:55]// 000000006CD8: D3CD0034 1CD22D96
	v_mfma_f32_16x16x16_f16 v[52:55], a[152:153], a[24:25], v[52:55]// 000000006CE0: D3CD0034 1CD23198
	ds_read_b128 v[108:111], v12 offset:13056                  // 000000006CE8: D9FE3300 6C00000C
	ds_write_b32 v11, v32                                      // 000000006CF0: D81A0000 0000200B
	v_mfma_f32_16x16x16_f16 v[52:55], a[154:155], a[26:27], v[52:55]// 000000006CF8: D3CD0034 1CD2359A
	buffer_atomic_add_f32 v141, v8, s[32:35], 0 offen offset:256// 000000006D00: E1341100 80088D08
	v_mfma_f32_16x16x16_f16 v[52:55], a[156:157], a[28:29], v[52:55]// 000000006D08: D3CD0034 1CD2399C
	v_mfma_f32_16x16x16_f16 v[52:55], a[158:159], a[30:31], v[52:55]// 000000006D10: D3CD0034 1CD23D9E
	ds_read_b128 v[112:115], v12 offset:13568                  // 000000006D18: D9FE3500 7000000C
	ds_write_b32 v11, v33 offset:1056                          // 000000006D20: D81A0420 0000210B
	v_mfma_f32_16x16x16_f16 v[56:59], a[144:145], a[32:33], 0  // 000000006D28: D3CD0038 1A024190
	buffer_atomic_add_f32 v142, v7, s[32:35], 0 offen offset:384// 000000006D30: E1341180 80088E07
	v_mfma_f32_16x16x16_f16 v[56:59], a[146:147], a[34:35], v[56:59]// 000000006D38: D3CD0038 1CE24592
	v_mfma_f32_16x16x16_f16 v[56:59], a[148:149], a[36:37], v[56:59]// 000000006D40: D3CD0038 1CE24994
	ds_read_b128 v[116:119], v12 offset:15232                  // 000000006D48: D9FE3B80 7400000C
	ds_write_b32 v11, v34 offset:128                           // 000000006D50: D81A0080 0000220B
	v_mfma_f32_16x16x16_f16 v[56:59], a[150:151], a[38:39], v[56:59]// 000000006D58: D3CD0038 1CE24D96
	v_mfma_f32_16x16x16_f16 v[56:59], a[152:153], a[40:41], v[56:59]// 000000006D60: D3CD0038 1CE25198
	buffer_atomic_add_f32 v143, v8, s[32:35], 0 offen offset:384// 000000006D68: E1341180 80088F08
	v_mfma_f32_16x16x16_f16 v[56:59], a[154:155], a[42:43], v[56:59]// 000000006D70: D3CD0038 1CE2559A
	ds_read_b128 v[120:123], v12 offset:15744                  // 000000006D78: D9FE3D80 7800000C
	ds_write_b32 v11, v35 offset:1184                          // 000000006D80: D81A04A0 0000230B
	v_mfma_f32_16x16x16_f16 v[56:59], a[156:157], a[44:45], v[56:59]// 000000006D88: D3CD0038 1CE2599C
	v_mfma_f32_16x16x16_f16 v[56:59], a[158:159], a[46:47], v[56:59]// 000000006D90: D3CD0038 1CE25D9E
	s_cmp_lt_i32 s74, 12                                       // 000000006D98: BF048C4A
	s_cbranch_scc0 label_0C62                                  // 000000006D9C: BF840075
	s_mov_b32 s60, 0xffe0fffe                                  // 000000006DA0: BEBC00FF FFE0FFFE
	s_mov_b32 s61, 0xe000fe00                                  // 000000006DA8: BEBD00FF E000FE00
	s_nop 0                                                    // 000000006DB0: BF800000
	s_add_u32 s62, 0, s46                                      // 000000006DB4: 803E2E80
	s_cmp_lt_i32 s74, s62                                      // 000000006DB8: BF043E4A
	s_cbranch_scc1 label_0C1D                                  // 000000006DBC: BF850028
	s_cmp_eq_i32 s74, s62                                      // 000000006DC0: BF003E4A
	s_cbranch_scc1 label_0C02                                  // 000000006DC4: BF85000B
	s_add_u32 s62, 4, s46                                      // 000000006DC8: 803E2E84
	s_cmp_lt_i32 s74, s62                                      // 000000006DCC: BF043E4A
	s_cbranch_scc1 label_0C3D                                  // 000000006DD0: BF850043
	s_cmp_eq_i32 s74, s62                                      // 000000006DD4: BF003E4A
	s_cbranch_scc1 label_0C22                                  // 000000006DD8: BF850026
	s_add_u32 s62, 8, s46                                      // 000000006DDC: 803E2E88
	s_cmp_lt_i32 s74, s62                                      // 000000006DE0: BF043E4A
	s_cbranch_scc1 label_0C5D                                  // 000000006DE4: BF85005E
	s_cmp_eq_i32 s74, s62                                      // 000000006DE8: BF003E4A
	s_cbranch_scc1 label_0C42                                  // 000000006DEC: BF850041
	s_branch label_0C62                                        // 000000006DF0: BF820060

0000000000006df4 <label_0C02>:
	v_cndmask_b32_e64 v48, v48, v151, s[60:61]                 // 000000006DF4: D1000030 00F32F30
	s_lshl_b32 s60, s60, 1                                     // 000000006DFC: 8E3C813C
	s_lshl_b32 s61, s61, 1                                     // 000000006E00: 8E3D813D
	s_and_b32 s60, 0xfffeffff, s60                             // 000000006E04: 863C3CFF FFFEFFFF
	s_and_b32 s61, 0xfffeffff, s61                             // 000000006E0C: 863D3DFF FFFEFFFF
	v_cndmask_b32_e64 v49, v49, v151, s[60:61]                 // 000000006E14: D1000031 00F32F31
	s_lshl_b32 s60, s60, 1                                     // 000000006E1C: 8E3C813C
	s_lshl_b32 s61, s61, 1                                     // 000000006E20: 8E3D813D
	s_and_b32 s60, 0xfffeffff, s60                             // 000000006E24: 863C3CFF FFFEFFFF
	s_and_b32 s61, 0xfffeffff, s61                             // 000000006E2C: 863D3DFF FFFEFFFF
	v_cndmask_b32_e64 v50, v50, v151, s[60:61]                 // 000000006E34: D1000032 00F32F32
	s_lshl_b32 s60, s60, 1                                     // 000000006E3C: 8E3C813C
	s_lshl_b32 s61, s61, 1                                     // 000000006E40: 8E3D813D
	s_and_b32 s60, 0xfffeffff, s60                             // 000000006E44: 863C3CFF FFFEFFFF
	s_and_b32 s61, 0xfffeffff, s61                             // 000000006E4C: 863D3DFF FFFEFFFF
	v_cndmask_b32_e64 v51, v51, v151, s[60:61]                 // 000000006E54: D1000033 00F32F33
	s_branch label_0C3D                                        // 000000006E5C: BF820020

0000000000006e60 <label_0C1D>:
	v_mov_b32_e32 v48, v151                                    // 000000006E60: 7E600397
	v_mov_b32_e32 v49, v151                                    // 000000006E64: 7E620397
	v_mov_b32_e32 v50, v151                                    // 000000006E68: 7E640397
	v_mov_b32_e32 v51, v151                                    // 000000006E6C: 7E660397
	s_branch label_0C3D                                        // 000000006E70: BF82001B

0000000000006e74 <label_0C22>:
	v_cndmask_b32_e64 v52, v52, v151, s[60:61]                 // 000000006E74: D1000034 00F32F34
	s_lshl_b32 s60, s60, 1                                     // 000000006E7C: 8E3C813C
	s_lshl_b32 s61, s61, 1                                     // 000000006E80: 8E3D813D
	s_and_b32 s60, 0xfffeffff, s60                             // 000000006E84: 863C3CFF FFFEFFFF
	s_and_b32 s61, 0xfffeffff, s61                             // 000000006E8C: 863D3DFF FFFEFFFF
	v_cndmask_b32_e64 v53, v53, v151, s[60:61]                 // 000000006E94: D1000035 00F32F35
	s_lshl_b32 s60, s60, 1                                     // 000000006E9C: 8E3C813C
	s_lshl_b32 s61, s61, 1                                     // 000000006EA0: 8E3D813D
	s_and_b32 s60, 0xfffeffff, s60                             // 000000006EA4: 863C3CFF FFFEFFFF
	s_and_b32 s61, 0xfffeffff, s61                             // 000000006EAC: 863D3DFF FFFEFFFF
	v_cndmask_b32_e64 v54, v54, v151, s[60:61]                 // 000000006EB4: D1000036 00F32F36
	s_lshl_b32 s60, s60, 1                                     // 000000006EBC: 8E3C813C
	s_lshl_b32 s61, s61, 1                                     // 000000006EC0: 8E3D813D
	s_and_b32 s60, 0xfffeffff, s60                             // 000000006EC4: 863C3CFF FFFEFFFF
	s_and_b32 s61, 0xfffeffff, s61                             // 000000006ECC: 863D3DFF FFFEFFFF
	v_cndmask_b32_e64 v55, v55, v151, s[60:61]                 // 000000006ED4: D1000037 00F32F37
	s_branch label_0C5D                                        // 000000006EDC: BF820020

0000000000006ee0 <label_0C3D>:
	v_mov_b32_e32 v52, v151                                    // 000000006EE0: 7E680397
	v_mov_b32_e32 v53, v151                                    // 000000006EE4: 7E6A0397
	v_mov_b32_e32 v54, v151                                    // 000000006EE8: 7E6C0397
	v_mov_b32_e32 v55, v151                                    // 000000006EEC: 7E6E0397
	s_branch label_0C5D                                        // 000000006EF0: BF82001B

0000000000006ef4 <label_0C42>:
	v_cndmask_b32_e64 v56, v56, v151, s[60:61]                 // 000000006EF4: D1000038 00F32F38
	s_lshl_b32 s60, s60, 1                                     // 000000006EFC: 8E3C813C
	s_lshl_b32 s61, s61, 1                                     // 000000006F00: 8E3D813D
	s_and_b32 s60, 0xfffeffff, s60                             // 000000006F04: 863C3CFF FFFEFFFF
	s_and_b32 s61, 0xfffeffff, s61                             // 000000006F0C: 863D3DFF FFFEFFFF
	v_cndmask_b32_e64 v57, v57, v151, s[60:61]                 // 000000006F14: D1000039 00F32F39
	s_lshl_b32 s60, s60, 1                                     // 000000006F1C: 8E3C813C
	s_lshl_b32 s61, s61, 1                                     // 000000006F20: 8E3D813D
	s_and_b32 s60, 0xfffeffff, s60                             // 000000006F24: 863C3CFF FFFEFFFF
	s_and_b32 s61, 0xfffeffff, s61                             // 000000006F2C: 863D3DFF FFFEFFFF
	v_cndmask_b32_e64 v58, v58, v151, s[60:61]                 // 000000006F34: D100003A 00F32F3A
	s_lshl_b32 s60, s60, 1                                     // 000000006F3C: 8E3C813C
	s_lshl_b32 s61, s61, 1                                     // 000000006F40: 8E3D813D
	s_and_b32 s60, 0xfffeffff, s60                             // 000000006F44: 863C3CFF FFFEFFFF
	s_and_b32 s61, 0xfffeffff, s61                             // 000000006F4C: 863D3DFF FFFEFFFF
	v_cndmask_b32_e64 v59, v59, v151, s[60:61]                 // 000000006F54: D100003B 00F32F3B
	s_branch label_0C62                                        // 000000006F5C: BF820005

0000000000006f60 <label_0C5D>:
	v_mov_b32_e32 v56, v151                                    // 000000006F60: 7E700397
	v_mov_b32_e32 v57, v151                                    // 000000006F64: 7E720397
	v_mov_b32_e32 v58, v151                                    // 000000006F68: 7E740397
	v_mov_b32_e32 v59, v151                                    // 000000006F6C: 7E760397
	s_branch label_0C62                                        // 000000006F70: BF820000

0000000000006f74 <label_0C62>:
	s_cmp_lt_i32 s84, 0xc0                                     // 000000006F74: BF04FF54 000000C0
	s_cbranch_scc0 label_0CB7                                  // 000000006F7C: BF84004D
	s_cmp_le_i32 s84, 64                                       // 000000006F80: BF05C054
	s_cbranch_scc1 label_0C6E                                  // 000000006F84: BF850007
	s_cmp_le_i32 s84, 0x80                                     // 000000006F88: BF05FF54 00000080
	s_cbranch_scc1 label_0C86                                  // 000000006F90: BF850017
	s_cmp_lt_i32 s84, 0xc0                                     // 000000006F94: BF04FF54 000000C0
	s_cbranch_scc1 label_0C9E                                  // 000000006F9C: BF85002C
	s_branch label_0CB7                                        // 000000006FA0: BF820044

0000000000006fa4 <label_0C6E>:
	s_mov_b32 s60, 0                                           // 000000006FA4: BEBC0080
	v_and_b32_e32 v28, 15, v0                                  // 000000006FA8: 2638008F
	v_add_u32_e64 v28, v28, s60                                // 000000006FAC: D134001C 0000791C
	v_mul_i32_i24_e64 v29, s46, 16                             // 000000006FB4: D106001D 0001202E
	v_add_u32_e32 v28, v28, v29                                // 000000006FBC: 68383B1C
	v_cmp_lt_u32_e64 s[60:61], v28, s84                        // 000000006FC0: D0C9003C 0000A91C
	s_nop 1                                                    // 000000006FC8: BF800001
	v_cndmask_b32_e64 v48, v151, v48, s[60:61]                 // 000000006FCC: D1000030 00F26197
	v_cndmask_b32_e64 v49, v151, v49, s[60:61]                 // 000000006FD4: D1000031 00F26397
	v_cndmask_b32_e64 v50, v151, v50, s[60:61]                 // 000000006FDC: D1000032 00F26597
	v_cndmask_b32_e64 v51, v151, v51, s[60:61]                 // 000000006FE4: D1000033 00F26797
	s_branch label_0C99                                        // 000000006FEC: BF820013

0000000000006ff0 <label_0C86>:
	s_mov_b32 s60, 64                                          // 000000006FF0: BEBC00C0
	v_and_b32_e32 v28, 15, v0                                  // 000000006FF4: 2638008F
	v_add_u32_e64 v28, v28, s60                                // 000000006FF8: D134001C 0000791C
	v_mul_i32_i24_e64 v29, s46, 16                             // 000000007000: D106001D 0001202E
	v_add_u32_e32 v28, v28, v29                                // 000000007008: 68383B1C
	v_cmp_lt_u32_e64 s[60:61], v28, s84                        // 00000000700C: D0C9003C 0000A91C
	s_nop 1                                                    // 000000007014: BF800001
	v_cndmask_b32_e64 v52, v151, v52, s[60:61]                 // 000000007018: D1000034 00F26997
	v_cndmask_b32_e64 v53, v151, v53, s[60:61]                 // 000000007020: D1000035 00F26B97
	v_cndmask_b32_e64 v54, v151, v54, s[60:61]                 // 000000007028: D1000036 00F26D97
	v_cndmask_b32_e64 v55, v151, v55, s[60:61]                 // 000000007030: D1000037 00F26F97
	s_branch label_0CB2                                        // 000000007038: BF820019

000000000000703c <label_0C99>:
	v_mov_b32_e32 v52, v151                                    // 00000000703C: 7E680397
	v_mov_b32_e32 v53, v151                                    // 000000007040: 7E6A0397
	v_mov_b32_e32 v54, v151                                    // 000000007044: 7E6C0397
	v_mov_b32_e32 v55, v151                                    // 000000007048: 7E6E0397
	s_branch label_0CB2                                        // 00000000704C: BF820014

0000000000007050 <label_0C9E>:
	s_mov_b32 s60, 0x80                                        // 000000007050: BEBC00FF 00000080
	v_and_b32_e32 v28, 15, v0                                  // 000000007058: 2638008F
	v_add_u32_e64 v28, v28, s60                                // 00000000705C: D134001C 0000791C
	v_mul_i32_i24_e64 v29, s46, 16                             // 000000007064: D106001D 0001202E
	v_add_u32_e32 v28, v28, v29                                // 00000000706C: 68383B1C
	v_cmp_lt_u32_e64 s[60:61], v28, s84                        // 000000007070: D0C9003C 0000A91C
	s_nop 1                                                    // 000000007078: BF800001
	v_cndmask_b32_e64 v56, v151, v56, s[60:61]                 // 00000000707C: D1000038 00F27197
	v_cndmask_b32_e64 v57, v151, v57, s[60:61]                 // 000000007084: D1000039 00F27397
	v_cndmask_b32_e64 v58, v151, v58, s[60:61]                 // 00000000708C: D100003A 00F27597
	v_cndmask_b32_e64 v59, v151, v59, s[60:61]                 // 000000007094: D100003B 00F27797
	s_branch label_0CB7                                        // 00000000709C: BF820005

00000000000070a0 <label_0CB2>:
	v_mov_b32_e32 v56, v151                                    // 0000000070A0: 7E700397
	v_mov_b32_e32 v57, v151                                    // 0000000070A4: 7E720397
	v_mov_b32_e32 v58, v151                                    // 0000000070A8: 7E740397
	v_mov_b32_e32 v59, v151                                    // 0000000070AC: 7E760397
	s_branch label_0CB7                                        // 0000000070B0: BF820000

00000000000070b4 <label_0CB7>:
	s_addk_i32 s74, 0x1                                        // 0000000070B4: B74A0001
	s_waitcnt lgkmcnt(8)                                       // 0000000070B8: BF8CC87F
	s_barrier                                                  // 0000000070BC: BF8A0000
	v_mfma_f32_16x16x16_f16 v[72:75], v[92:93], a[96:97], 0    // 0000000070C0: D3CD0048 1202C15C
	ds_read_b128 a[144:147], v12 offset:4352                   // 0000000070C8: DBFE1100 9000000C
	ds_read_b128 a[148:151], v12 offset:4864                   // 0000000070D0: DBFE1300 9400000C
	v_mfma_f32_16x16x16_f16 v[72:75], v[94:95], a[98:99], v[72:75]// 0000000070D8: D3CD0048 1522C55E
	v_fma_f32 v48, v48, s57, -v124                             // 0000000070E0: D1CB0030 85F07330
	v_fma_f32 v49, v49, s57, -v125                             // 0000000070E8: D1CB0031 85F47331
	v_fma_f32 v50, v50, s57, -v126                             // 0000000070F0: D1CB0032 85F87332
	v_mfma_f32_16x16x16_f16 v[72:75], v[96:97], a[100:101], v[72:75]// 0000000070F8: D3CD0048 1522C960
	v_fma_f32 v51, v51, s57, -v127                             // 000000007100: D1CB0033 85FC7333
	v_fma_f32 v52, v52, s57, -v124                             // 000000007108: D1CB0034 85F07334
	v_fma_f32 v53, v53, s57, -v125                             // 000000007110: D1CB0035 85F47335
	v_mfma_f32_16x16x16_f16 v[72:75], v[98:99], a[102:103], v[72:75]// 000000007118: D3CD0048 1522CD62
	v_fma_f32 v54, v54, s57, -v126                             // 000000007120: D1CB0036 85F87336
	v_fma_f32 v55, v55, s57, -v127                             // 000000007128: D1CB0037 85FC7337
	v_fma_f32 v56, v56, s57, -v124                             // 000000007130: D1CB0038 85F07338
	v_mfma_f32_16x16x16_f16 v[72:75], v[100:101], a[104:105], v[72:75]// 000000007138: D3CD0048 1522D164
	ds_read_b128 a[152:155], v12 offset:6528                   // 000000007140: DBFE1980 9800000C
	ds_read_b128 a[156:159], v12 offset:7040                   // 000000007148: DBFE1B80 9C00000C
	v_mfma_f32_16x16x16_f16 v[72:75], v[102:103], a[106:107], v[72:75]// 000000007150: D3CD0048 1522D566
	v_fma_f32 v57, v57, s57, -v125                             // 000000007158: D1CB0039 85F47339
	v_fma_f32 v58, v58, s57, -v126                             // 000000007160: D1CB003A 85F8733A
	v_fma_f32 v59, v59, s57, -v127                             // 000000007168: D1CB003B 85FC733B
	v_mfma_f32_16x16x16_f16 v[72:75], v[104:105], a[108:109], v[72:75]// 000000007170: D3CD0048 1522D968
	v_exp_f32_e32 v48, v48                                     // 000000007178: 7E604130
	v_mfma_f32_16x16x16_f16 v[72:75], v[106:107], a[110:111], v[72:75]// 00000000717C: D3CD0048 1522DD6A
	v_exp_f32_e32 v49, v49                                     // 000000007184: 7E624131
	v_mfma_f32_16x16x16_f16 v[76:79], v[92:93], a[112:113], 0  // 000000007188: D3CD004C 1202E15C
	ds_read_b64 v[136:137], v19 offset:24320                   // 000000007190: D8EC5F00 88000013
	ds_read_b64 v[138:139], v19 offset:26368                   // 000000007198: D8EC6700 8A000013
	v_mfma_f32_16x16x16_f16 v[76:79], v[94:95], a[114:115], v[76:79]// 0000000071A0: D3CD004C 1532E55E
	v_exp_f32_e32 v50, v50                                     // 0000000071A8: 7E644132
	v_mfma_f32_16x16x16_f16 v[76:79], v[96:97], a[116:117], v[76:79]// 0000000071AC: D3CD004C 1532E960
	ds_read_b64 v[140:141], v19 offset:28416                   // 0000000071B4: D8EC6F00 8C000013
	ds_read_b64 v[142:143], v19 offset:30464                   // 0000000071BC: D8EC7700 8E000013
	v_mfma_f32_16x16x16_f16 v[76:79], v[98:99], a[118:119], v[76:79]// 0000000071C4: D3CD004C 1532ED62
	v_exp_f32_e32 v51, v51                                     // 0000000071CC: 7E664133
	v_mfma_f32_16x16x16_f16 v[76:79], v[100:101], a[120:121], v[76:79]// 0000000071D0: D3CD004C 1532F164
	v_exp_f32_e32 v52, v52                                     // 0000000071D8: 7E684134
	v_mfma_f32_16x16x16_f16 v[76:79], v[102:103], a[122:123], v[76:79]// 0000000071DC: D3CD004C 1532F566
	v_exp_f32_e32 v53, v53                                     // 0000000071E4: 7E6A4135
	v_mfma_f32_16x16x16_f16 v[76:79], v[104:105], a[124:125], v[76:79]// 0000000071E8: D3CD004C 1532F968
	v_exp_f32_e32 v54, v54                                     // 0000000071F0: 7E6C4136
	v_mfma_f32_16x16x16_f16 v[76:79], v[106:107], a[126:127], v[76:79]// 0000000071F4: D3CD004C 1532FD6A
	v_exp_f32_e32 v55, v55                                     // 0000000071FC: 7E6E4137
	v_mfma_f32_16x16x16_f16 v[80:83], v[92:93], a[128:129], 0  // 000000007200: D3CD0050 1203015C
	v_exp_f32_e32 v56, v56                                     // 000000007208: 7E704138
	v_mfma_f32_16x16x16_f16 v[80:83], v[94:95], a[130:131], v[80:83]// 00000000720C: D3CD0050 1543055E
	v_exp_f32_e32 v57, v57                                     // 000000007214: 7E724139
	v_mfma_f32_16x16x16_f16 v[80:83], v[96:97], a[132:133], v[80:83]// 000000007218: D3CD0050 15430960
	v_exp_f32_e32 v58, v58                                     // 000000007220: 7E74413A
	v_mfma_f32_16x16x16_f16 v[80:83], v[98:99], a[134:135], v[80:83]// 000000007224: D3CD0050 15430D62
	v_exp_f32_e32 v59, v59                                     // 00000000722C: 7E76413B
	v_mfma_f32_16x16x16_f16 v[80:83], v[100:101], a[136:137], v[80:83]// 000000007230: D3CD0050 15431164
	v_cvt_pkrtz_f16_f32 v144, v48, v49                         // 000000007238: D2960090 00026330
	v_cvt_pkrtz_f16_f32 v145, v50, v51                         // 000000007240: D2960091 00026732
	v_cvt_pkrtz_f16_f32 v146, v52, v53                         // 000000007248: D2960092 00026B34
	v_mfma_f32_16x16x16_f16 v[80:83], v[102:103], a[138:139], v[80:83]// 000000007250: D3CD0050 15431566
	v_cvt_pkrtz_f16_f32 v147, v54, v55                         // 000000007258: D2960093 00026F36
	v_cvt_pkrtz_f16_f32 v148, v56, v57                         // 000000007260: D2960094 00027338
	v_cvt_pkrtz_f16_f32 v149, v58, v59                         // 000000007268: D2960095 0002773A
	v_mfma_f32_16x16x16_f16 v[80:83], v[104:105], a[140:141], v[80:83]// 000000007270: D3CD0050 15431968
	v_add_u32_e32 v7, s66, v7                                  // 000000007278: 680E0E42
	v_add_u32_e32 v8, s66, v8                                  // 00000000727C: 68101042
	v_mfma_f32_16x16x16_f16 v[80:83], v[106:107], a[142:143], v[80:83]// 000000007280: D3CD0050 15431D6A
	s_waitcnt lgkmcnt(0)                                       // 000000007288: BF8CC07F
	s_barrier                                                  // 00000000728C: BF8A0000
	v_mfma_f32_16x16x16_f16 v[152:155], v[108:109], v[144:145], v[152:155]// 000000007290: D3CD0098 0663216C
	v_subrev_f32_dpp v72, v150, v72 quad_perm:[0,0,0,0] row_mask:0xf bank_mask:0xf// 000000007298: 069090FA FF000096
	v_subrev_f32_dpp v73, v150, v73 quad_perm:[1,1,1,1] row_mask:0xf bank_mask:0xf// 0000000072A0: 069292FA FF005596
	v_subrev_f32_dpp v74, v150, v74 quad_perm:[2,2,2,2] row_mask:0xf bank_mask:0xf// 0000000072A8: 069494FA FF00AA96
	v_mfma_f32_16x16x16_f16 v[156:159], v[110:111], v[144:145], v[156:159]// 0000000072B0: D3CD009C 0673216E
	v_subrev_f32_dpp v75, v150, v75 quad_perm:[3,3,3,3] row_mask:0xf bank_mask:0xf// 0000000072B8: 069696FA FF00FF96
	v_subrev_f32_dpp v76, v150, v76 quad_perm:[0,0,0,0] row_mask:0xf bank_mask:0xf// 0000000072C0: 069898FA FF000096
	v_subrev_f32_dpp v77, v150, v77 quad_perm:[1,1,1,1] row_mask:0xf bank_mask:0xf// 0000000072C8: 069A9AFA FF005596
	v_mfma_f32_16x16x16_f16 v[160:163], v[112:113], v[144:145], v[160:163]// 0000000072D0: D3CD00A0 06832170
	v_mul_f32_e32 v72, v48, v72                                // 0000000072D8: 0A909130
	v_mul_f32_e32 v73, v49, v73                                // 0000000072DC: 0A929331
	v_mul_f32_e32 v74, v50, v74                                // 0000000072E0: 0A949532
	v_mfma_f32_16x16x16_f16 v[164:167], v[114:115], v[144:145], v[164:167]// 0000000072E4: D3CD00A4 06932172
	v_mul_f32_e32 v75, v51, v75                                // 0000000072EC: 0A969733
	v_mul_f32_e32 v76, v52, v76                                // 0000000072F0: 0A989934
	v_mul_f32_e32 v77, v53, v77                                // 0000000072F4: 0A9A9B35
	v_mfma_f32_16x16x16_f16 v[168:171], v[116:117], v[144:145], v[168:171]// 0000000072F8: D3CD00A8 06A32174
	v_cvt_pkrtz_f16_f32 v72, v72, v73                          // 000000007300: D2960048 00029348
	v_cvt_pkrtz_f16_f32 v73, v74, v75                          // 000000007308: D2960049 0002974A
	v_cvt_pkrtz_f16_f32 v74, v76, v77                          // 000000007310: D296004A 00029B4C
	v_mfma_f32_16x16x16_f16 v[172:175], v[118:119], v[144:145], v[172:175]// 000000007318: D3CD00AC 06B32176
	v_mov_b32_dpp v16, v72 quad_perm:[1,0,3,2] row_mask:0xf bank_mask:0xf// 000000007320: 7E2002FA FF00B148
	v_perm_b32 v48, v16, v72, v15                              // 000000007328: D1ED0030 043E9110
	v_mov_b32_dpp v16, v73 quad_perm:[1,0,3,2] row_mask:0xf bank_mask:0xf// 000000007330: 7E2002FA FF00B149
	v_mfma_f32_16x16x16_f16 v[176:179], v[120:121], v[144:145], v[176:179]// 000000007338: D3CD00B0 06C32178
	v_perm_b32 v49, v16, v73, v15                              // 000000007340: D1ED0031 043E9310
	v_mov_b32_dpp v16, v74 quad_perm:[1,0,3,2] row_mask:0xf bank_mask:0xf// 000000007348: 7E2002FA FF00B14A
	v_perm_b32 v50, v16, v74, v15                              // 000000007350: D1ED0032 043E9510
	v_mfma_f32_16x16x16_f16 v[180:183], v[122:123], v[144:145], v[180:183]// 000000007358: D3CD00B4 06D3217A
	ds_write_b32 v18, v48 offset:17408                         // 000000007360: D81A4400 00003012
	v_mfma_f32_16x16x16_f16 v[184:187], v[108:109], v[146:147], v[184:187]// 000000007368: D3CD00B8 06E3256C
	v_subrev_f32_dpp v78, v150, v78 quad_perm:[2,2,2,2] row_mask:0xf bank_mask:0xf// 000000007370: 069C9CFA FF00AA96
	v_subrev_f32_dpp v79, v150, v79 quad_perm:[3,3,3,3] row_mask:0xf bank_mask:0xf// 000000007378: 069E9EFA FF00FF96
	v_subrev_f32_dpp v80, v150, v80 quad_perm:[0,0,0,0] row_mask:0xf bank_mask:0xf// 000000007380: 06A0A0FA FF000096
	v_mfma_f32_16x16x16_f16 v[188:191], v[110:111], v[146:147], v[188:191]// 000000007388: D3CD00BC 06F3256E
	ds_write_b32 v18, v49 offset:17952                         // 000000007390: D81A4620 00003112
	v_mfma_f32_16x16x16_f16 v[192:195], v[112:113], v[146:147], v[192:195]// 000000007398: D3CD00C0 07032570
	v_subrev_f32_dpp v81, v150, v81 quad_perm:[1,1,1,1] row_mask:0xf bank_mask:0xf// 0000000073A0: 06A2A2FA FF005596
	v_subrev_f32_dpp v82, v150, v82 quad_perm:[2,2,2,2] row_mask:0xf bank_mask:0xf// 0000000073A8: 06A4A4FA FF00AA96
	v_subrev_f32_dpp v83, v150, v83 quad_perm:[3,3,3,3] row_mask:0xf bank_mask:0xf// 0000000073B0: 06A6A6FA FF00FF96
	v_mfma_f32_16x16x16_f16 v[196:199], v[114:115], v[146:147], v[196:199]// 0000000073B8: D3CD00C4 07132572
	ds_write_b32 v18, v50 offset:19712                         // 0000000073C0: D81A4D00 00003212
	v_mfma_f32_16x16x16_f16 v[200:203], v[116:117], v[146:147], v[200:203]// 0000000073C8: D3CD00C8 07232574
	v_mul_f32_e32 v78, v54, v78                                // 0000000073D0: 0A9C9D36
	v_mul_f32_e32 v79, v55, v79                                // 0000000073D4: 0A9E9F37
	v_mul_f32_e32 v80, v56, v80                                // 0000000073D8: 0AA0A138
	v_mfma_f32_16x16x16_f16 v[204:207], v[118:119], v[146:147], v[204:207]// 0000000073DC: D3CD00CC 07332576
	v_mul_f32_e32 v81, v57, v81                                // 0000000073E4: 0AA2A339
	v_mul_f32_e32 v82, v58, v82                                // 0000000073E8: 0AA4A53A
	v_mul_f32_e32 v83, v59, v83                                // 0000000073EC: 0AA6A73B
	v_mfma_f32_16x16x16_f16 v[208:211], v[120:121], v[146:147], v[208:211]// 0000000073F0: D3CD00D0 07432578
	v_cvt_pkrtz_f16_f32 v75, v78, v79                          // 0000000073F8: D296004B 00029F4E
	v_cvt_pkrtz_f16_f32 v76, v80, v81                          // 000000007400: D296004C 0002A350
	v_cvt_pkrtz_f16_f32 v77, v82, v83                          // 000000007408: D296004D 0002A752
	v_mfma_f32_16x16x16_f16 v[212:215], v[122:123], v[146:147], v[212:215]// 000000007410: D3CD00D4 0753257A
	v_mov_b32_dpp v16, v75 quad_perm:[1,0,3,2] row_mask:0xf bank_mask:0xf// 000000007418: 7E2002FA FF00B14B
	v_perm_b32 v51, v16, v75, v15                              // 000000007420: D1ED0033 043E9710
	v_mov_b32_dpp v16, v76 quad_perm:[1,0,3,2] row_mask:0xf bank_mask:0xf// 000000007428: 7E2002FA FF00B14C
	v_mfma_f32_16x16x16_f16 v[216:219], v[108:109], v[148:149], v[216:219]// 000000007430: D3CD00D8 0763296C
	v_perm_b32 v52, v16, v76, v15                              // 000000007438: D1ED0034 043E9910
	v_mov_b32_dpp v16, v77 quad_perm:[1,0,3,2] row_mask:0xf bank_mask:0xf// 000000007440: 7E2002FA FF00B14D
	v_perm_b32 v53, v16, v77, v15                              // 000000007448: D1ED0035 043E9B10
	v_mfma_f32_16x16x16_f16 v[220:223], v[110:111], v[148:149], v[220:223]// 000000007450: D3CD00DC 0773296E
	ds_write_b32 v18, v51 offset:20256                         // 000000007458: D81A4F20 00003312
	v_mfma_f32_16x16x16_f16 v[224:227], v[112:113], v[148:149], v[224:227]// 000000007460: D3CD00E0 07832970
	v_mfma_f32_16x16x16_f16 v[228:231], v[114:115], v[148:149], v[228:231]// 000000007468: D3CD00E4 07932972
	ds_write_b32 v18, v52 offset:22016                         // 000000007470: D81A5600 00003412
	ds_write_b32 v18, v53 offset:22560                         // 000000007478: D81A5820 00003512
	v_mfma_f32_16x16x16_f16 v[232:235], v[116:117], v[148:149], v[232:235]// 000000007480: D3CD00E8 07A32974
	v_mfma_f32_16x16x16_f16 v[236:239], v[118:119], v[148:149], v[236:239]// 000000007488: D3CD00EC 07B32976
	ds_write_b32 v13, v84 offset:4352                          // 000000007490: D81A1100 0000540D
	ds_write_b32 v13, v85 offset:5408                          // 000000007498: D81A1520 0000550D
	v_mfma_f32_16x16x16_f16 v[240:243], v[120:121], v[148:149], v[240:243]// 0000000074A0: D3CD00F0 07C32978
	s_nop 0                                                    // 0000000074A8: BF800000
	s_nop 0                                                    // 0000000074AC: BF800000
	s_nop 0                                                    // 0000000074B0: BF800000
	v_mfma_f32_16x16x16_f16 v[244:247], v[122:123], v[148:149], v[244:247]// 0000000074B4: D3CD00F4 07D3297A
	ds_write_b32 v13, v86 offset:4480                          // 0000000074BC: D81A1180 0000560D
	ds_write_b32 v13, v87 offset:5536                          // 0000000074C4: D81A15A0 0000570D
	s_barrier                                                  // 0000000074CC: BF8A0000
	v_mfma_f32_16x16x16_f16 a[160:163], a[144:145], v[72:73], a[160:163]// 0000000074D0: D3CD80A0 0E829190
	buffer_atomic_add_f32 v136, v7, s[32:35], 0 offen          // 0000000074D8: E1341000 80088807
	v_mfma_f32_16x16x16_f16 a[164:167], a[146:147], v[72:73], a[164:167]// 0000000074E0: D3CD80A4 0E929192
	ds_read_b32 v124, v21 offset:50688                         // 0000000074E8: D86CC600 7C000015
	ds_read_b32 v150, v21 offset:50944                         // 0000000074F0: D86CC700 96000015
	v_mfma_f32_16x16x16_f16 a[168:171], a[148:149], v[72:73], a[168:171]// 0000000074F8: D3CD80A8 0EA29194
	s_waitcnt lgkmcnt(6)                                       // 000000007500: BF8CC67F
	s_barrier                                                  // 000000007504: BF8A0000
	v_mfma_f32_16x16x16_f16 a[172:175], a[150:151], v[72:73], a[172:175]// 000000007508: D3CD80AC 0EB29196
	ds_read_b128 v[48:51], v17 offset:17408                    // 000000007510: D9FE4400 30000011
	v_mfma_f32_16x16x16_f16 a[176:179], a[152:153], v[72:73], a[176:179]// 000000007518: D3CD80B0 0EC29198
	v_mfma_f32_16x16x16_f16 a[180:183], a[154:155], v[72:73], a[180:183]// 000000007520: D3CD80B4 0ED2919A
	ds_read_b128 v[52:55], v17 offset:18560                    // 000000007528: D9FE4880 34000011
	v_mfma_f32_16x16x16_f16 a[184:187], a[156:157], v[72:73], a[184:187]// 000000007530: D3CD80B8 0EE2919C
	buffer_atomic_add_f32 v137, v8, s[32:35], 0 offen          // 000000007538: E1341000 80088908
	v_mfma_f32_16x16x16_f16 a[188:191], a[158:159], v[72:73], a[188:191]// 000000007540: D3CD80BC 0EF2919E
	ds_read_b128 v[56:59], v17 offset:19712                    // 000000007548: D9FE4D00 38000011
	v_mfma_f32_16x16x16_f16 a[192:195], a[144:145], v[74:75], a[192:195]// 000000007550: D3CD80C0 0F029590
	v_mfma_f32_16x16x16_f16 a[196:199], a[146:147], v[74:75], a[196:199]// 000000007558: D3CD80C4 0F129592
	ds_read_b128 v[60:63], v17 offset:20864                    // 000000007560: D9FE5180 3C000011
	v_mfma_f32_16x16x16_f16 a[200:203], a[148:149], v[74:75], a[200:203]// 000000007568: D3CD80C8 0F229594
	v_mfma_f32_16x16x16_f16 a[204:207], a[150:151], v[74:75], a[204:207]// 000000007570: D3CD80CC 0F329596
	ds_read_b128 v[64:67], v17 offset:22016                    // 000000007578: D9FE5600 40000011
	v_mfma_f32_16x16x16_f16 a[208:211], a[152:153], v[74:75], a[208:211]// 000000007580: D3CD80D0 0F429598
	buffer_atomic_add_f32 v138, v7, s[32:35], 0 offen offset:128// 000000007588: E1341080 80088A07
	v_mfma_f32_16x16x16_f16 a[212:215], a[154:155], v[74:75], a[212:215]// 000000007590: D3CD80D4 0F52959A
	ds_read_b128 v[68:71], v17 offset:23168                    // 000000007598: D9FE5A80 44000011
	v_mfma_f32_16x16x16_f16 a[216:219], a[156:157], v[74:75], a[216:219]// 0000000075A0: D3CD80D8 0F62959C
	v_mfma_f32_16x16x16_f16 a[220:223], a[158:159], v[74:75], a[220:223]// 0000000075A8: D3CD80DC 0F72959E
	ds_write_b32 v13, v88 offset:13056                         // 0000000075B0: D81A3300 0000580D
	v_mfma_f32_16x16x16_f16 a[224:227], a[144:145], v[76:77], a[224:227]// 0000000075B8: D3CD80E0 0F829990
	v_mfma_f32_16x16x16_f16 a[228:231], a[146:147], v[76:77], a[228:231]// 0000000075C0: D3CD80E4 0F929992
	ds_write_b32 v13, v89 offset:14112                         // 0000000075C8: D81A3720 0000590D
	v_mfma_f32_16x16x16_f16 a[232:235], a[148:149], v[76:77], a[232:235]// 0000000075D0: D3CD80E8 0FA29994
	buffer_atomic_add_f32 v139, v8, s[32:35], 0 offen offset:128// 0000000075D8: E1341080 80088B08
	v_mfma_f32_16x16x16_f16 a[236:239], a[150:151], v[76:77], a[236:239]// 0000000075E0: D3CD80EC 0FB29996
	ds_write_b32 v13, v90 offset:13184                         // 0000000075E8: D81A3380 00005A0D
	v_mfma_f32_16x16x16_f16 a[240:243], a[152:153], v[76:77], a[240:243]// 0000000075F0: D3CD80F0 0FC29998
	v_mfma_f32_16x16x16_f16 a[244:247], a[154:155], v[76:77], a[244:247]// 0000000075F8: D3CD80F4 0FD2999A
	ds_write_b32 v13, v91 offset:14240                         // 000000007600: D81A37A0 00005B0D
	v_mfma_f32_16x16x16_f16 a[248:251], a[156:157], v[76:77], a[248:251]// 000000007608: D3CD80F8 0FE2999C
	v_mfma_f32_16x16x16_f16 a[252:255], a[158:159], v[76:77], a[252:255]// 000000007610: D3CD80FC 0FF2999E
	s_waitcnt vmcnt(8) lgkmcnt(4)                              // 000000007618: BF8C0478
	s_barrier                                                  // 00000000761C: BF8A0000
	v_mfma_f32_16x16x16_f16 v[128:131], v[48:49], a[48:49], 0  // 000000007620: D3CD0080 12026130
	v_mul_f32_e32 v124, s48, v124                              // 000000007628: 0AF8F830
	s_nop 0                                                    // 00000000762C: BF800000
	v_mfma_f32_16x16x16_f16 v[128:131], v[50:51], a[52:53], v[128:131]// 000000007630: D3CD0080 16026932
	ds_read_b128 a[144:147], v10                               // 000000007638: DBFE0000 9000000A
	buffer_load_dword v32, v1, s[8:11], 0 idxen                // 000000007640: E0502000 80022001
	v_mfma_f32_16x16x16_f16 v[128:131], v[52:53], a[56:57], v[128:131]// 000000007648: D3CD0080 16027134
	v_mfma_f32_16x16x16_f16 v[128:131], v[54:55], a[60:61], v[128:131]// 000000007650: D3CD0080 16027936
	ds_read_b128 a[148:151], v10 offset:512                    // 000000007658: DBFE0200 9400000A
	buffer_load_dword v33, v2, s[8:11], 0 idxen                // 000000007660: E0502000 80022102
	v_mfma_f32_16x16x16_f16 v[128:131], v[56:57], a[64:65], v[128:131]// 000000007668: D3CD0080 16028138
	v_perm_b32 v84, v37, v36, s63                              // 000000007670: D1ED0054 00FE4925
	v_perm_b32 v85, v37, v36, s64                              // 000000007678: D1ED0055 01024925
	v_mfma_f32_16x16x16_f16 v[128:131], v[58:59], a[68:69], v[128:131]// 000000007680: D3CD0080 1602893A
	ds_read_b128 a[152:155], v10 offset:2176                   // 000000007688: DBFE0880 9800000A
	buffer_load_dword v34, v3, s[8:11], 0 idxen                // 000000007690: E0502000 80022203
	v_mfma_f32_16x16x16_f16 v[128:131], v[60:61], a[72:73], v[128:131]// 000000007698: D3CD0080 1602913C
	v_perm_b32 v86, v39, v38, s63                              // 0000000076A0: D1ED0056 00FE4D27
	v_perm_b32 v87, v39, v38, s64                              // 0000000076A8: D1ED0057 01024D27
	v_mfma_f32_16x16x16_f16 v[128:131], v[62:63], a[76:77], v[128:131]// 0000000076B0: D3CD0080 1602993E
	ds_read_b128 a[156:159], v10 offset:2688                   // 0000000076B8: DBFE0A80 9C00000A
	buffer_load_dword v35, v4, s[8:11], 0 idxen                // 0000000076C0: E0502000 80022304
	v_mfma_f32_16x16x16_f16 v[128:131], v[64:65], a[80:81], v[128:131]// 0000000076C8: D3CD0080 1602A140
	v_perm_b32 v88, v45, v44, s63                              // 0000000076D0: D1ED0058 00FE592D
	v_perm_b32 v89, v45, v44, s64                              // 0000000076D8: D1ED0059 0102592D
	v_mfma_f32_16x16x16_f16 v[128:131], v[66:67], a[84:85], v[128:131]// 0000000076E0: D3CD0080 1602A942
	ds_read_b128 v[92:95], v10 offset:8704                     // 0000000076E8: D9FE2200 5C00000A
	buffer_load_dword v40, v248, s[20:23], 0 idxen             // 0000000076F0: E0502000 800528F8
	v_mfma_f32_16x16x16_f16 v[128:131], v[68:69], a[88:89], v[128:131]// 0000000076F8: D3CD0080 1602B144
	v_perm_b32 v90, v47, v46, s63                              // 000000007700: D1ED005A 00FE5D2F
	v_perm_b32 v91, v47, v46, s64                              // 000000007708: D1ED005B 01025D2F
	v_mfma_f32_16x16x16_f16 v[128:131], v[70:71], a[92:93], v[128:131]// 000000007710: D3CD0080 1602B946
	ds_read_b128 v[96:99], v10 offset:9216                     // 000000007718: D9FE2400 6000000A
	buffer_load_dword v41, v249, s[20:23], 0 idxen             // 000000007720: E0502000 800529F9
	v_mfma_f32_16x16x16_f16 v[132:135], v[48:49], a[50:51], 0  // 000000007728: D3CD0084 12026530
	v_mov_b32_dpp v127, v124 quad_perm:[3,3,3,3] row_mask:0xf bank_mask:0xf// 000000007730: 7EFE02FA FF00FF7C
	v_mov_b32_dpp v126, v124 quad_perm:[2,2,2,2] row_mask:0xf bank_mask:0xf// 000000007738: 7EFC02FA FF00AA7C
	v_mfma_f32_16x16x16_f16 v[132:135], v[50:51], a[54:55], v[132:135]// 000000007740: D3CD0084 16126D32
	ds_read_b128 v[100:103], v10 offset:10880                  // 000000007748: D9FE2A80 6400000A
	buffer_load_dword v42, v250, s[20:23], 0 idxen             // 000000007750: E0502000 80052AFA
	v_mfma_f32_16x16x16_f16 v[132:135], v[52:53], a[58:59], v[132:135]// 000000007758: D3CD0084 16127534
	v_mov_b32_dpp v125, v124 quad_perm:[1,1,1,1] row_mask:0xf bank_mask:0xf// 000000007760: 7EFA02FA FF00557C
	v_mov_b32_dpp v124, v124 quad_perm:[0,0,0,0] row_mask:0xf bank_mask:0xf// 000000007768: 7EF802FA FF00007C
	s_add_u32 s60, 64, s59                                     // 000000007770: 803C3BC0
	v_mfma_f32_16x16x16_f16 v[132:135], v[54:55], a[62:63], v[132:135]// 000000007774: D3CD0084 16127D36
	ds_read_b128 v[104:107], v10 offset:11392                  // 00000000777C: D9FE2C80 6800000A
	buffer_load_dword v43, v251, s[20:23], 0 idxen             // 000000007784: E0502000 80052BFB
	v_mfma_f32_16x16x16_f16 v[132:135], v[56:57], a[66:67], v[132:135]// 00000000778C: D3CD0084 16128538
	s_cmp_lt_u32 s60, s58                                      // 000000007794: BF0A3A3C
	s_cselect_b32 s68, s68, 0                                  // 000000007798: 85448044
	s_cselect_b32 s100, s100, 0                                // 00000000779C: 85648064
	s_cselect_b32 s69, s69, 0                                  // 0000000077A0: 85458045
	v_mfma_f32_16x16x16_f16 v[132:135], v[58:59], a[70:71], v[132:135]// 0000000077A4: D3CD0084 16128D3A
	buffer_load_dword v9, s[24:27], 0 idxen lds                // 0000000077AC: E0512000 80060009
	v_mfma_f32_16x16x16_f16 v[132:135], v[60:61], a[74:75], v[132:135]// 0000000077B4: D3CD0084 1612953C
	v_add_u32_e32 v1, s68, v1                                  // 0000000077BC: 68020244
	v_add_u32_e32 v2, s68, v2                                  // 0000000077C0: 68040444
	v_add_u32_e32 v3, s68, v3                                  // 0000000077C4: 68060644
	v_add_u32_e32 v4, s68, v4                                  // 0000000077C8: 68080844
	v_mfma_f32_16x16x16_f16 v[132:135], v[62:63], a[78:79], v[132:135]// 0000000077CC: D3CD0084 16129D3E
	v_add_u32_e32 v248, s100, v248                             // 0000000077D4: 69F1F064
	v_add_u32_e32 v249, s100, v249                             // 0000000077D8: 69F3F264
	v_add_u32_e32 v250, s100, v250                             // 0000000077DC: 69F5F464
	v_add_u32_e32 v251, s100, v251                             // 0000000077E0: 69F7F664
	v_mfma_f32_16x16x16_f16 v[132:135], v[64:65], a[82:83], v[132:135]// 0000000077E4: D3CD0084 1612A540
	s_mov_b32 m0, s79                                          // 0000000077EC: BEFC004F
	v_add_u32_e32 v9, s69, v9                                  // 0000000077F0: 68121245
	v_mfma_f32_16x16x16_f16 v[132:135], v[66:67], a[86:87], v[132:135]// 0000000077F4: D3CD0084 1612AD42
	s_cmp_ge_u32 s59, s73                                      // 0000000077FC: BF09493B
	s_cselect_b32 s66, s67, s66                                // 000000007800: 85424243
	v_mfma_f32_16x16x16_f16 v[132:135], v[68:69], a[90:91], v[132:135]// 000000007804: D3CD0084 1612B544
	s_addk_i32 s59, 0x10                                       // 00000000780C: B73B0010
	s_nop 0                                                    // 000000007810: BF800000
	s_cmp_lt_i32 s59, s58                                      // 000000007814: BF043A3B
	v_mfma_f32_16x16x16_f16 v[132:135], v[70:71], a[94:95], v[132:135]// 000000007818: D3CD0084 1612BD46
	s_cbranch_scc0 label_0E94                                  // 000000007820: BF840001
	s_branch label_087F                                        // 000000007824: BF82F9F5

0000000000007828 <label_0E94>:
	s_nop 0                                                    // 000000007828: BF800000
	s_nop 0                                                    // 00000000782C: BF800000
	s_nop 0                                                    // 000000007830: BF800000
	s_nop 0                                                    // 000000007834: BF800000
	;; [unrolled: 1-line block ×3, first 2 shown]
	s_nop 0                                                    // 00000000783C: BF800000
	s_branch label_14B0                                        // 000000007840: BF82060B

0000000000007844 <label_0E9B>:
	s_waitcnt lgkmcnt(0)                                       // 000000007844: BF8CC07F
	s_barrier                                                  // 000000007848: BF8A0000
	v_mfma_f32_16x16x16_f16 v[48:51], a[144:145], a[0:1], 0    // 00000000784C: D3CD0030 1A020190
	v_mul_f32_e32 v128, s47, v128                              // 000000007854: 0B01002F
	v_mul_f32_e32 v129, s47, v129                              // 000000007858: 0B03022F
	v_mfma_f32_16x16x16_f16 v[48:51], a[146:147], a[2:3], v[48:51]// 00000000785C: D3CD0030 1CC20592
	ds_write_b32 v11, v44 offset:8704                          // 000000007864: D81A2200 00002C0B
	ds_write_b32 v11, v45 offset:9760                          // 00000000786C: D81A2620 00002D0B
	v_mfma_f32_16x16x16_f16 v[48:51], a[148:149], a[4:5], v[48:51]// 000000007874: D3CD0030 1CC20994
	v_mul_f32_e32 v130, s47, v130                              // 00000000787C: 0B05042F
	v_mul_f32_e32 v131, s47, v131                              // 000000007880: 0B07062F
	v_mfma_f32_16x16x16_f16 v[48:51], a[150:151], a[6:7], v[48:51]// 000000007884: D3CD0030 1CC20D96
	ds_write_b32 v11, v46 offset:8832                          // 00000000788C: D81A2280 00002E0B
	ds_write_b32 v11, v47 offset:9888                          // 000000007894: D81A26A0 00002F0B
	v_mfma_f32_16x16x16_f16 v[48:51], a[152:153], a[8:9], v[48:51]// 00000000789C: D3CD0030 1CC21198
	v_mul_f32_e32 v132, s47, v132                              // 0000000078A4: 0B09082F
	v_mul_f32_e32 v133, s47, v133                              // 0000000078A8: 0B0B0A2F
	v_mfma_f32_16x16x16_f16 v[48:51], a[154:155], a[10:11], v[48:51]// 0000000078AC: D3CD0030 1CC2159A
	ds_write_b64 v20, v[128:129] offset:24320                  // 0000000078B4: D89A5F00 00008014
	v_mfma_f32_16x16x16_f16 v[48:51], a[156:157], a[12:13], v[48:51]// 0000000078BC: D3CD0030 1CC2199C
	v_mul_f32_e32 v134, s47, v134                              // 0000000078C4: 0B0D0C2F
	v_mul_f32_e32 v135, s47, v135                              // 0000000078C8: 0B0F0E2F
	v_mfma_f32_16x16x16_f16 v[48:51], a[158:159], a[14:15], v[48:51]// 0000000078CC: D3CD0030 1CC21D9E
	ds_write_b64 v20, v[130:131] offset:24832                  // 0000000078D4: D89A6100 00008214
	v_mfma_f32_16x16x16_f16 v[52:55], a[144:145], a[16:17], 0  // 0000000078DC: D3CD0034 1A022190
	buffer_atomic_add_f32 v140, v7, s[32:35], 0 offen offset:256// 0000000078E4: E1341100 80088C07
	v_mfma_f32_16x16x16_f16 v[52:55], a[146:147], a[18:19], v[52:55]// 0000000078EC: D3CD0034 1CD22592
	ds_write_b64 v20, v[132:133] offset:25344                  // 0000000078F4: D89A6300 00008414
	v_mfma_f32_16x16x16_f16 v[52:55], a[148:149], a[20:21], v[52:55]// 0000000078FC: D3CD0034 1CD22994
	v_mfma_f32_16x16x16_f16 v[52:55], a[150:151], a[22:23], v[52:55]// 000000007904: D3CD0034 1CD22D96
	ds_write_b64 v20, v[134:135] offset:25856                  // 00000000790C: D89A6500 00008614
	v_mfma_f32_16x16x16_f16 v[52:55], a[152:153], a[24:25], v[52:55]// 000000007914: D3CD0034 1CD23198
	buffer_atomic_add_f32 v141, v8, s[32:35], 0 offen offset:256// 00000000791C: E1341100 80088D08
	v_mfma_f32_16x16x16_f16 v[52:55], a[154:155], a[26:27], v[52:55]// 000000007924: D3CD0034 1CD2359A
	ds_read_b128 v[108:111], v12 offset:13056                  // 00000000792C: D9FE3300 6C00000C
	ds_write_b32 v11, v36                                      // 000000007934: D81A0000 0000240B
	v_mfma_f32_16x16x16_f16 v[52:55], a[156:157], a[28:29], v[52:55]// 00000000793C: D3CD0034 1CD2399C
	v_mfma_f32_16x16x16_f16 v[52:55], a[158:159], a[30:31], v[52:55]// 000000007944: D3CD0034 1CD23D9E
	v_mfma_f32_16x16x16_f16 v[56:59], a[144:145], a[32:33], 0  // 00000000794C: D3CD0038 1A024190
	ds_read_b128 v[112:115], v12 offset:13568                  // 000000007954: D9FE3500 7000000C
	ds_write_b32 v11, v37 offset:1056                          // 00000000795C: D81A0420 0000250B
	v_mfma_f32_16x16x16_f16 v[56:59], a[146:147], a[34:35], v[56:59]// 000000007964: D3CD0038 1CE24592
	buffer_atomic_add_f32 v142, v7, s[32:35], 0 offen offset:384// 00000000796C: E1341180 80088E07
	v_mfma_f32_16x16x16_f16 v[56:59], a[148:149], a[36:37], v[56:59]// 000000007974: D3CD0038 1CE24994
	v_mfma_f32_16x16x16_f16 v[56:59], a[150:151], a[38:39], v[56:59]// 00000000797C: D3CD0038 1CE24D96
	ds_read_b128 v[116:119], v12 offset:15232                  // 000000007984: D9FE3B80 7400000C
	ds_write_b32 v11, v38 offset:128                           // 00000000798C: D81A0080 0000260B
	v_mfma_f32_16x16x16_f16 v[56:59], a[152:153], a[40:41], v[56:59]// 000000007994: D3CD0038 1CE25198
	v_mfma_f32_16x16x16_f16 v[56:59], a[154:155], a[42:43], v[56:59]// 00000000799C: D3CD0038 1CE2559A
	buffer_atomic_add_f32 v143, v8, s[32:35], 0 offen offset:384// 0000000079A4: E1341180 80088F08
	v_mfma_f32_16x16x16_f16 v[56:59], a[156:157], a[44:45], v[56:59]// 0000000079AC: D3CD0038 1CE2599C
	ds_read_b128 v[120:123], v12 offset:15744                  // 0000000079B4: D9FE3D80 7800000C
	ds_write_b32 v11, v39 offset:1184                          // 0000000079BC: D81A04A0 0000270B
	v_mfma_f32_16x16x16_f16 v[56:59], a[158:159], a[46:47], v[56:59]// 0000000079C4: D3CD0038 1CE25D9E
	s_cmp_lt_i32 s74, 12                                       // 0000000079CC: BF048C4A
	s_cbranch_scc0 label_0F74                                  // 0000000079D0: BF840075
	s_mov_b32 s60, 0xffe0fffe                                  // 0000000079D4: BEBC00FF FFE0FFFE
	s_mov_b32 s61, 0xe000fe00                                  // 0000000079DC: BEBD00FF E000FE00
	s_nop 0                                                    // 0000000079E4: BF800000
	s_add_u32 s62, 0, s46                                      // 0000000079E8: 803E2E80
	s_cmp_lt_i32 s74, s62                                      // 0000000079EC: BF043E4A
	s_cbranch_scc1 label_0F2F                                  // 0000000079F0: BF850028
	s_cmp_eq_i32 s74, s62                                      // 0000000079F4: BF003E4A
	s_cbranch_scc1 label_0F14                                  // 0000000079F8: BF85000B
	s_add_u32 s62, 4, s46                                      // 0000000079FC: 803E2E84
	s_cmp_lt_i32 s74, s62                                      // 000000007A00: BF043E4A
	s_cbranch_scc1 label_0F4F                                  // 000000007A04: BF850043
	s_cmp_eq_i32 s74, s62                                      // 000000007A08: BF003E4A
	s_cbranch_scc1 label_0F34                                  // 000000007A0C: BF850026
	s_add_u32 s62, 8, s46                                      // 000000007A10: 803E2E88
	s_cmp_lt_i32 s74, s62                                      // 000000007A14: BF043E4A
	s_cbranch_scc1 label_0F6F                                  // 000000007A18: BF85005E
	s_cmp_eq_i32 s74, s62                                      // 000000007A1C: BF003E4A
	s_cbranch_scc1 label_0F54                                  // 000000007A20: BF850041
	s_branch label_0F74                                        // 000000007A24: BF820060

0000000000007a28 <label_0F14>:
	v_cndmask_b32_e64 v48, v48, v151, s[60:61]                 // 000000007A28: D1000030 00F32F30
	s_lshl_b32 s60, s60, 1                                     // 000000007A30: 8E3C813C
	s_lshl_b32 s61, s61, 1                                     // 000000007A34: 8E3D813D
	s_and_b32 s60, 0xfffeffff, s60                             // 000000007A38: 863C3CFF FFFEFFFF
	s_and_b32 s61, 0xfffeffff, s61                             // 000000007A40: 863D3DFF FFFEFFFF
	v_cndmask_b32_e64 v49, v49, v151, s[60:61]                 // 000000007A48: D1000031 00F32F31
	s_lshl_b32 s60, s60, 1                                     // 000000007A50: 8E3C813C
	s_lshl_b32 s61, s61, 1                                     // 000000007A54: 8E3D813D
	s_and_b32 s60, 0xfffeffff, s60                             // 000000007A58: 863C3CFF FFFEFFFF
	s_and_b32 s61, 0xfffeffff, s61                             // 000000007A60: 863D3DFF FFFEFFFF
	v_cndmask_b32_e64 v50, v50, v151, s[60:61]                 // 000000007A68: D1000032 00F32F32
	s_lshl_b32 s60, s60, 1                                     // 000000007A70: 8E3C813C
	s_lshl_b32 s61, s61, 1                                     // 000000007A74: 8E3D813D
	s_and_b32 s60, 0xfffeffff, s60                             // 000000007A78: 863C3CFF FFFEFFFF
	s_and_b32 s61, 0xfffeffff, s61                             // 000000007A80: 863D3DFF FFFEFFFF
	v_cndmask_b32_e64 v51, v51, v151, s[60:61]                 // 000000007A88: D1000033 00F32F33
	s_branch label_0F4F                                        // 000000007A90: BF820020

0000000000007a94 <label_0F2F>:
	v_mov_b32_e32 v48, v151                                    // 000000007A94: 7E600397
	v_mov_b32_e32 v49, v151                                    // 000000007A98: 7E620397
	v_mov_b32_e32 v50, v151                                    // 000000007A9C: 7E640397
	v_mov_b32_e32 v51, v151                                    // 000000007AA0: 7E660397
	s_branch label_0F4F                                        // 000000007AA4: BF82001B

0000000000007aa8 <label_0F34>:
	v_cndmask_b32_e64 v52, v52, v151, s[60:61]                 // 000000007AA8: D1000034 00F32F34
	s_lshl_b32 s60, s60, 1                                     // 000000007AB0: 8E3C813C
	s_lshl_b32 s61, s61, 1                                     // 000000007AB4: 8E3D813D
	s_and_b32 s60, 0xfffeffff, s60                             // 000000007AB8: 863C3CFF FFFEFFFF
	s_and_b32 s61, 0xfffeffff, s61                             // 000000007AC0: 863D3DFF FFFEFFFF
	v_cndmask_b32_e64 v53, v53, v151, s[60:61]                 // 000000007AC8: D1000035 00F32F35
	s_lshl_b32 s60, s60, 1                                     // 000000007AD0: 8E3C813C
	s_lshl_b32 s61, s61, 1                                     // 000000007AD4: 8E3D813D
	s_and_b32 s60, 0xfffeffff, s60                             // 000000007AD8: 863C3CFF FFFEFFFF
	s_and_b32 s61, 0xfffeffff, s61                             // 000000007AE0: 863D3DFF FFFEFFFF
	v_cndmask_b32_e64 v54, v54, v151, s[60:61]                 // 000000007AE8: D1000036 00F32F36
	s_lshl_b32 s60, s60, 1                                     // 000000007AF0: 8E3C813C
	s_lshl_b32 s61, s61, 1                                     // 000000007AF4: 8E3D813D
	s_and_b32 s60, 0xfffeffff, s60                             // 000000007AF8: 863C3CFF FFFEFFFF
	s_and_b32 s61, 0xfffeffff, s61                             // 000000007B00: 863D3DFF FFFEFFFF
	v_cndmask_b32_e64 v55, v55, v151, s[60:61]                 // 000000007B08: D1000037 00F32F37
	s_branch label_0F6F                                        // 000000007B10: BF820020

0000000000007b14 <label_0F4F>:
	v_mov_b32_e32 v52, v151                                    // 000000007B14: 7E680397
	v_mov_b32_e32 v53, v151                                    // 000000007B18: 7E6A0397
	v_mov_b32_e32 v54, v151                                    // 000000007B1C: 7E6C0397
	v_mov_b32_e32 v55, v151                                    // 000000007B20: 7E6E0397
	s_branch label_0F6F                                        // 000000007B24: BF82001B

0000000000007b28 <label_0F54>:
	v_cndmask_b32_e64 v56, v56, v151, s[60:61]                 // 000000007B28: D1000038 00F32F38
	s_lshl_b32 s60, s60, 1                                     // 000000007B30: 8E3C813C
	s_lshl_b32 s61, s61, 1                                     // 000000007B34: 8E3D813D
	s_and_b32 s60, 0xfffeffff, s60                             // 000000007B38: 863C3CFF FFFEFFFF
	s_and_b32 s61, 0xfffeffff, s61                             // 000000007B40: 863D3DFF FFFEFFFF
	v_cndmask_b32_e64 v57, v57, v151, s[60:61]                 // 000000007B48: D1000039 00F32F39
	s_lshl_b32 s60, s60, 1                                     // 000000007B50: 8E3C813C
	s_lshl_b32 s61, s61, 1                                     // 000000007B54: 8E3D813D
	s_and_b32 s60, 0xfffeffff, s60                             // 000000007B58: 863C3CFF FFFEFFFF
	s_and_b32 s61, 0xfffeffff, s61                             // 000000007B60: 863D3DFF FFFEFFFF
	v_cndmask_b32_e64 v58, v58, v151, s[60:61]                 // 000000007B68: D100003A 00F32F3A
	s_lshl_b32 s60, s60, 1                                     // 000000007B70: 8E3C813C
	s_lshl_b32 s61, s61, 1                                     // 000000007B74: 8E3D813D
	s_and_b32 s60, 0xfffeffff, s60                             // 000000007B78: 863C3CFF FFFEFFFF
	s_and_b32 s61, 0xfffeffff, s61                             // 000000007B80: 863D3DFF FFFEFFFF
	v_cndmask_b32_e64 v59, v59, v151, s[60:61]                 // 000000007B88: D100003B 00F32F3B
	s_branch label_0F74                                        // 000000007B90: BF820005

0000000000007b94 <label_0F6F>:
	v_mov_b32_e32 v56, v151                                    // 000000007B94: 7E700397
	v_mov_b32_e32 v57, v151                                    // 000000007B98: 7E720397
	v_mov_b32_e32 v58, v151                                    // 000000007B9C: 7E740397
	v_mov_b32_e32 v59, v151                                    // 000000007BA0: 7E760397
	s_branch label_0F74                                        // 000000007BA4: BF820000

0000000000007ba8 <label_0F74>:
	s_cmp_lt_i32 s84, 0xc0                                     // 000000007BA8: BF04FF54 000000C0
	s_cbranch_scc0 label_0FC9                                  // 000000007BB0: BF84004D
	s_cmp_le_i32 s84, 64                                       // 000000007BB4: BF05C054
	s_cbranch_scc1 label_0F80                                  // 000000007BB8: BF850007
	s_cmp_le_i32 s84, 0x80                                     // 000000007BBC: BF05FF54 00000080
	s_cbranch_scc1 label_0F98                                  // 000000007BC4: BF850017
	s_cmp_lt_i32 s84, 0xc0                                     // 000000007BC8: BF04FF54 000000C0
	s_cbranch_scc1 label_0FB0                                  // 000000007BD0: BF85002C
	s_branch label_0FC9                                        // 000000007BD4: BF820044

0000000000007bd8 <label_0F80>:
	s_mov_b32 s60, 0                                           // 000000007BD8: BEBC0080
	v_and_b32_e32 v28, 15, v0                                  // 000000007BDC: 2638008F
	v_add_u32_e64 v28, v28, s60                                // 000000007BE0: D134001C 0000791C
	v_mul_i32_i24_e64 v29, s46, 16                             // 000000007BE8: D106001D 0001202E
	v_add_u32_e32 v28, v28, v29                                // 000000007BF0: 68383B1C
	v_cmp_lt_u32_e64 s[60:61], v28, s84                        // 000000007BF4: D0C9003C 0000A91C
	s_nop 1                                                    // 000000007BFC: BF800001
	v_cndmask_b32_e64 v48, v151, v48, s[60:61]                 // 000000007C00: D1000030 00F26197
	v_cndmask_b32_e64 v49, v151, v49, s[60:61]                 // 000000007C08: D1000031 00F26397
	v_cndmask_b32_e64 v50, v151, v50, s[60:61]                 // 000000007C10: D1000032 00F26597
	v_cndmask_b32_e64 v51, v151, v51, s[60:61]                 // 000000007C18: D1000033 00F26797
	s_branch label_0FAB                                        // 000000007C20: BF820013

0000000000007c24 <label_0F98>:
	s_mov_b32 s60, 64                                          // 000000007C24: BEBC00C0
	v_and_b32_e32 v28, 15, v0                                  // 000000007C28: 2638008F
	v_add_u32_e64 v28, v28, s60                                // 000000007C2C: D134001C 0000791C
	v_mul_i32_i24_e64 v29, s46, 16                             // 000000007C34: D106001D 0001202E
	v_add_u32_e32 v28, v28, v29                                // 000000007C3C: 68383B1C
	v_cmp_lt_u32_e64 s[60:61], v28, s84                        // 000000007C40: D0C9003C 0000A91C
	s_nop 1                                                    // 000000007C48: BF800001
	v_cndmask_b32_e64 v52, v151, v52, s[60:61]                 // 000000007C4C: D1000034 00F26997
	v_cndmask_b32_e64 v53, v151, v53, s[60:61]                 // 000000007C54: D1000035 00F26B97
	v_cndmask_b32_e64 v54, v151, v54, s[60:61]                 // 000000007C5C: D1000036 00F26D97
	v_cndmask_b32_e64 v55, v151, v55, s[60:61]                 // 000000007C64: D1000037 00F26F97
	s_branch label_0FC4                                        // 000000007C6C: BF820019

0000000000007c70 <label_0FAB>:
	v_mov_b32_e32 v52, v151                                    // 000000007C70: 7E680397
	v_mov_b32_e32 v53, v151                                    // 000000007C74: 7E6A0397
	v_mov_b32_e32 v54, v151                                    // 000000007C78: 7E6C0397
	v_mov_b32_e32 v55, v151                                    // 000000007C7C: 7E6E0397
	s_branch label_0FC4                                        // 000000007C80: BF820014

0000000000007c84 <label_0FB0>:
	s_mov_b32 s60, 0x80                                        // 000000007C84: BEBC00FF 00000080
	v_and_b32_e32 v28, 15, v0                                  // 000000007C8C: 2638008F
	v_add_u32_e64 v28, v28, s60                                // 000000007C90: D134001C 0000791C
	v_mul_i32_i24_e64 v29, s46, 16                             // 000000007C98: D106001D 0001202E
	v_add_u32_e32 v28, v28, v29                                // 000000007CA0: 68383B1C
	v_cmp_lt_u32_e64 s[60:61], v28, s84                        // 000000007CA4: D0C9003C 0000A91C
	s_nop 1                                                    // 000000007CAC: BF800001
	v_cndmask_b32_e64 v56, v151, v56, s[60:61]                 // 000000007CB0: D1000038 00F27197
	v_cndmask_b32_e64 v57, v151, v57, s[60:61]                 // 000000007CB8: D1000039 00F27397
	v_cndmask_b32_e64 v58, v151, v58, s[60:61]                 // 000000007CC0: D100003A 00F27597
	v_cndmask_b32_e64 v59, v151, v59, s[60:61]                 // 000000007CC8: D100003B 00F27797
	s_branch label_0FC9                                        // 000000007CD0: BF820005

0000000000007cd4 <label_0FC4>:
	v_mov_b32_e32 v56, v151                                    // 000000007CD4: 7E700397
	v_mov_b32_e32 v57, v151                                    // 000000007CD8: 7E720397
	v_mov_b32_e32 v58, v151                                    // 000000007CDC: 7E740397
	v_mov_b32_e32 v59, v151                                    // 000000007CE0: 7E760397
	s_branch label_0FC9                                        // 000000007CE4: BF820000

0000000000007ce8 <label_0FC9>:
	s_addk_i32 s74, 0x1                                        // 000000007CE8: B74A0001
	s_waitcnt lgkmcnt(8)                                       // 000000007CEC: BF8CC87F
	s_barrier                                                  // 000000007CF0: BF8A0000
	v_mfma_f32_16x16x16_f16 v[72:75], v[92:93], a[96:97], 0    // 000000007CF4: D3CD0048 1202C15C
	v_fma_f32 v48, v48, s57, -v124                             // 000000007CFC: D1CB0030 85F07330
	v_fma_f32 v49, v49, s57, -v125                             // 000000007D04: D1CB0031 85F47331
	v_fma_f32 v50, v50, s57, -v126                             // 000000007D0C: D1CB0032 85F87332
	v_mfma_f32_16x16x16_f16 v[72:75], v[94:95], a[98:99], v[72:75]// 000000007D14: D3CD0048 1522C55E
	ds_read_b128 a[144:147], v12 offset:4352                   // 000000007D1C: DBFE1100 9000000C
	ds_read_b128 a[148:151], v12 offset:4864                   // 000000007D24: DBFE1300 9400000C
	v_mfma_f32_16x16x16_f16 v[72:75], v[96:97], a[100:101], v[72:75]// 000000007D2C: D3CD0048 1522C960
	v_fma_f32 v51, v51, s57, -v127                             // 000000007D34: D1CB0033 85FC7333
	v_fma_f32 v52, v52, s57, -v124                             // 000000007D3C: D1CB0034 85F07334
	v_fma_f32 v53, v53, s57, -v125                             // 000000007D44: D1CB0035 85F47335
	v_mfma_f32_16x16x16_f16 v[72:75], v[98:99], a[102:103], v[72:75]// 000000007D4C: D3CD0048 1522CD62
	v_fma_f32 v54, v54, s57, -v126                             // 000000007D54: D1CB0036 85F87336
	v_fma_f32 v55, v55, s57, -v127                             // 000000007D5C: D1CB0037 85FC7337
	v_fma_f32 v56, v56, s57, -v124                             // 000000007D64: D1CB0038 85F07338
	v_mfma_f32_16x16x16_f16 v[72:75], v[100:101], a[104:105], v[72:75]// 000000007D6C: D3CD0048 1522D164
	v_fma_f32 v57, v57, s57, -v125                             // 000000007D74: D1CB0039 85F47339
	v_fma_f32 v58, v58, s57, -v126                             // 000000007D7C: D1CB003A 85F8733A
	v_fma_f32 v59, v59, s57, -v127                             // 000000007D84: D1CB003B 85FC733B
	v_mfma_f32_16x16x16_f16 v[72:75], v[102:103], a[106:107], v[72:75]// 000000007D8C: D3CD0048 1522D566
	ds_read_b128 a[152:155], v12 offset:6528                   // 000000007D94: DBFE1980 9800000C
	ds_read_b128 a[156:159], v12 offset:7040                   // 000000007D9C: DBFE1B80 9C00000C
	v_mfma_f32_16x16x16_f16 v[72:75], v[104:105], a[108:109], v[72:75]// 000000007DA4: D3CD0048 1522D968
	v_exp_f32_e32 v48, v48                                     // 000000007DAC: 7E604130
	v_mfma_f32_16x16x16_f16 v[72:75], v[106:107], a[110:111], v[72:75]// 000000007DB0: D3CD0048 1522DD6A
	v_exp_f32_e32 v49, v49                                     // 000000007DB8: 7E624131
	v_mfma_f32_16x16x16_f16 v[76:79], v[92:93], a[112:113], 0  // 000000007DBC: D3CD004C 1202E15C
	v_exp_f32_e32 v50, v50                                     // 000000007DC4: 7E644132
	v_mfma_f32_16x16x16_f16 v[76:79], v[94:95], a[114:115], v[76:79]// 000000007DC8: D3CD004C 1532E55E
	ds_read_b64 v[136:137], v19 offset:24320                   // 000000007DD0: D8EC5F00 88000013
	ds_read_b64 v[138:139], v19 offset:26368                   // 000000007DD8: D8EC6700 8A000013
	v_mfma_f32_16x16x16_f16 v[76:79], v[96:97], a[116:117], v[76:79]// 000000007DE0: D3CD004C 1532E960
	v_exp_f32_e32 v51, v51                                     // 000000007DE8: 7E664133
	v_mfma_f32_16x16x16_f16 v[76:79], v[98:99], a[118:119], v[76:79]// 000000007DEC: D3CD004C 1532ED62
	ds_read_b64 v[140:141], v19 offset:28416                   // 000000007DF4: D8EC6F00 8C000013
	ds_read_b64 v[142:143], v19 offset:30464                   // 000000007DFC: D8EC7700 8E000013
	v_mfma_f32_16x16x16_f16 v[76:79], v[100:101], a[120:121], v[76:79]// 000000007E04: D3CD004C 1532F164
	v_exp_f32_e32 v52, v52                                     // 000000007E0C: 7E684134
	v_mfma_f32_16x16x16_f16 v[76:79], v[102:103], a[122:123], v[76:79]// 000000007E10: D3CD004C 1532F566
	v_exp_f32_e32 v53, v53                                     // 000000007E18: 7E6A4135
	v_mfma_f32_16x16x16_f16 v[76:79], v[104:105], a[124:125], v[76:79]// 000000007E1C: D3CD004C 1532F968
	v_exp_f32_e32 v54, v54                                     // 000000007E24: 7E6C4136
	v_mfma_f32_16x16x16_f16 v[76:79], v[106:107], a[126:127], v[76:79]// 000000007E28: D3CD004C 1532FD6A
	v_exp_f32_e32 v55, v55                                     // 000000007E30: 7E6E4137
	v_mfma_f32_16x16x16_f16 v[80:83], v[92:93], a[128:129], 0  // 000000007E34: D3CD0050 1203015C
	v_exp_f32_e32 v56, v56                                     // 000000007E3C: 7E704138
	v_mfma_f32_16x16x16_f16 v[80:83], v[94:95], a[130:131], v[80:83]// 000000007E40: D3CD0050 1543055E
	v_exp_f32_e32 v57, v57                                     // 000000007E48: 7E724139
	v_mfma_f32_16x16x16_f16 v[80:83], v[96:97], a[132:133], v[80:83]// 000000007E4C: D3CD0050 15430960
	v_exp_f32_e32 v58, v58                                     // 000000007E54: 7E74413A
	v_mfma_f32_16x16x16_f16 v[80:83], v[98:99], a[134:135], v[80:83]// 000000007E58: D3CD0050 15430D62
	v_exp_f32_e32 v59, v59                                     // 000000007E60: 7E76413B
	v_mfma_f32_16x16x16_f16 v[80:83], v[100:101], a[136:137], v[80:83]// 000000007E64: D3CD0050 15431164
	v_cvt_pkrtz_f16_f32 v144, v48, v49                         // 000000007E6C: D2960090 00026330
	v_cvt_pkrtz_f16_f32 v145, v50, v51                         // 000000007E74: D2960091 00026732
	v_cvt_pkrtz_f16_f32 v146, v52, v53                         // 000000007E7C: D2960092 00026B34
	v_mfma_f32_16x16x16_f16 v[80:83], v[102:103], a[138:139], v[80:83]// 000000007E84: D3CD0050 15431566
	v_cvt_pkrtz_f16_f32 v147, v54, v55                         // 000000007E8C: D2960093 00026F36
	v_cvt_pkrtz_f16_f32 v148, v56, v57                         // 000000007E94: D2960094 00027338
	v_cvt_pkrtz_f16_f32 v149, v58, v59                         // 000000007E9C: D2960095 0002773A
	v_mfma_f32_16x16x16_f16 v[80:83], v[104:105], a[140:141], v[80:83]// 000000007EA4: D3CD0050 15431968
	v_add_u32_e32 v7, s66, v7                                  // 000000007EAC: 680E0E42
	v_add_u32_e32 v8, s66, v8                                  // 000000007EB0: 68101042
	v_mfma_f32_16x16x16_f16 v[80:83], v[106:107], a[142:143], v[80:83]// 000000007EB4: D3CD0050 15431D6A
	s_waitcnt lgkmcnt(0)                                       // 000000007EBC: BF8CC07F
	s_barrier                                                  // 000000007EC0: BF8A0000
	v_mfma_f32_16x16x16_f16 v[152:155], v[108:109], v[144:145], v[152:155]// 000000007EC4: D3CD0098 0663216C
	v_subrev_f32_dpp v72, v150, v72 quad_perm:[0,0,0,0] row_mask:0xf bank_mask:0xf// 000000007ECC: 069090FA FF000096
	v_subrev_f32_dpp v73, v150, v73 quad_perm:[1,1,1,1] row_mask:0xf bank_mask:0xf// 000000007ED4: 069292FA FF005596
	v_subrev_f32_dpp v74, v150, v74 quad_perm:[2,2,2,2] row_mask:0xf bank_mask:0xf// 000000007EDC: 069494FA FF00AA96
	v_mfma_f32_16x16x16_f16 v[156:159], v[110:111], v[144:145], v[156:159]// 000000007EE4: D3CD009C 0673216E
	v_subrev_f32_dpp v75, v150, v75 quad_perm:[3,3,3,3] row_mask:0xf bank_mask:0xf// 000000007EEC: 069696FA FF00FF96
	v_subrev_f32_dpp v76, v150, v76 quad_perm:[0,0,0,0] row_mask:0xf bank_mask:0xf// 000000007EF4: 069898FA FF000096
	v_subrev_f32_dpp v77, v150, v77 quad_perm:[1,1,1,1] row_mask:0xf bank_mask:0xf// 000000007EFC: 069A9AFA FF005596
	v_mfma_f32_16x16x16_f16 v[160:163], v[112:113], v[144:145], v[160:163]// 000000007F04: D3CD00A0 06832170
	v_mul_f32_e32 v72, v48, v72                                // 000000007F0C: 0A909130
	v_mul_f32_e32 v73, v49, v73                                // 000000007F10: 0A929331
	v_mul_f32_e32 v74, v50, v74                                // 000000007F14: 0A949532
	v_mfma_f32_16x16x16_f16 v[164:167], v[114:115], v[144:145], v[164:167]// 000000007F18: D3CD00A4 06932172
	v_mul_f32_e32 v75, v51, v75                                // 000000007F20: 0A969733
	v_mul_f32_e32 v76, v52, v76                                // 000000007F24: 0A989934
	v_mul_f32_e32 v77, v53, v77                                // 000000007F28: 0A9A9B35
	v_mfma_f32_16x16x16_f16 v[168:171], v[116:117], v[144:145], v[168:171]// 000000007F2C: D3CD00A8 06A32174
	v_cvt_pkrtz_f16_f32 v72, v72, v73                          // 000000007F34: D2960048 00029348
	v_cvt_pkrtz_f16_f32 v73, v74, v75                          // 000000007F3C: D2960049 0002974A
	v_cvt_pkrtz_f16_f32 v74, v76, v77                          // 000000007F44: D296004A 00029B4C
	v_mfma_f32_16x16x16_f16 v[172:175], v[118:119], v[144:145], v[172:175]// 000000007F4C: D3CD00AC 06B32176
	v_mov_b32_dpp v16, v72 quad_perm:[1,0,3,2] row_mask:0xf bank_mask:0xf// 000000007F54: 7E2002FA FF00B148
	v_perm_b32 v48, v16, v72, v15                              // 000000007F5C: D1ED0030 043E9110
	v_mov_b32_dpp v16, v73 quad_perm:[1,0,3,2] row_mask:0xf bank_mask:0xf// 000000007F64: 7E2002FA FF00B149
	v_mfma_f32_16x16x16_f16 v[176:179], v[120:121], v[144:145], v[176:179]// 000000007F6C: D3CD00B0 06C32178
	ds_write_b32 v18, v48 offset:17408                         // 000000007F74: D81A4400 00003012
	v_mfma_f32_16x16x16_f16 v[180:183], v[122:123], v[144:145], v[180:183]// 000000007F7C: D3CD00B4 06D3217A
	v_perm_b32 v49, v16, v73, v15                              // 000000007F84: D1ED0031 043E9310
	v_mov_b32_dpp v16, v74 quad_perm:[1,0,3,2] row_mask:0xf bank_mask:0xf// 000000007F8C: 7E2002FA FF00B14A
	v_perm_b32 v50, v16, v74, v15                              // 000000007F94: D1ED0032 043E9510
	v_mfma_f32_16x16x16_f16 v[184:187], v[108:109], v[146:147], v[184:187]// 000000007F9C: D3CD00B8 06E3256C
	ds_write_b32 v18, v49 offset:17952                         // 000000007FA4: D81A4620 00003112
	v_mfma_f32_16x16x16_f16 v[188:191], v[110:111], v[146:147], v[188:191]// 000000007FAC: D3CD00BC 06F3256E
	v_subrev_f32_dpp v78, v150, v78 quad_perm:[2,2,2,2] row_mask:0xf bank_mask:0xf// 000000007FB4: 069C9CFA FF00AA96
	v_subrev_f32_dpp v79, v150, v79 quad_perm:[3,3,3,3] row_mask:0xf bank_mask:0xf// 000000007FBC: 069E9EFA FF00FF96
	v_subrev_f32_dpp v80, v150, v80 quad_perm:[0,0,0,0] row_mask:0xf bank_mask:0xf// 000000007FC4: 06A0A0FA FF000096
	v_mfma_f32_16x16x16_f16 v[192:195], v[112:113], v[146:147], v[192:195]// 000000007FCC: D3CD00C0 07032570
	ds_write_b32 v18, v50 offset:19712                         // 000000007FD4: D81A4D00 00003212
	v_mfma_f32_16x16x16_f16 v[196:199], v[114:115], v[146:147], v[196:199]// 000000007FDC: D3CD00C4 07132572
	v_subrev_f32_dpp v81, v150, v81 quad_perm:[1,1,1,1] row_mask:0xf bank_mask:0xf// 000000007FE4: 06A2A2FA FF005596
	v_subrev_f32_dpp v82, v150, v82 quad_perm:[2,2,2,2] row_mask:0xf bank_mask:0xf// 000000007FEC: 06A4A4FA FF00AA96
	v_subrev_f32_dpp v83, v150, v83 quad_perm:[3,3,3,3] row_mask:0xf bank_mask:0xf// 000000007FF4: 06A6A6FA FF00FF96
	v_mfma_f32_16x16x16_f16 v[200:203], v[116:117], v[146:147], v[200:203]// 000000007FFC: D3CD00C8 07232574
	v_mul_f32_e32 v78, v54, v78                                // 000000008004: 0A9C9D36
	v_mul_f32_e32 v79, v55, v79                                // 000000008008: 0A9E9F37
	v_mul_f32_e32 v80, v56, v80                                // 00000000800C: 0AA0A138
	v_mfma_f32_16x16x16_f16 v[204:207], v[118:119], v[146:147], v[204:207]// 000000008010: D3CD00CC 07332576
	v_mul_f32_e32 v81, v57, v81                                // 000000008018: 0AA2A339
	v_mul_f32_e32 v82, v58, v82                                // 00000000801C: 0AA4A53A
	v_mul_f32_e32 v83, v59, v83                                // 000000008020: 0AA6A73B
	v_mfma_f32_16x16x16_f16 v[208:211], v[120:121], v[146:147], v[208:211]// 000000008024: D3CD00D0 07432578
	v_cvt_pkrtz_f16_f32 v75, v78, v79                          // 00000000802C: D296004B 00029F4E
	v_cvt_pkrtz_f16_f32 v76, v80, v81                          // 000000008034: D296004C 0002A350
	v_cvt_pkrtz_f16_f32 v77, v82, v83                          // 00000000803C: D296004D 0002A752
	v_mfma_f32_16x16x16_f16 v[212:215], v[122:123], v[146:147], v[212:215]// 000000008044: D3CD00D4 0753257A
	v_mov_b32_dpp v16, v75 quad_perm:[1,0,3,2] row_mask:0xf bank_mask:0xf// 00000000804C: 7E2002FA FF00B14B
	v_perm_b32 v51, v16, v75, v15                              // 000000008054: D1ED0033 043E9710
	v_mov_b32_dpp v16, v76 quad_perm:[1,0,3,2] row_mask:0xf bank_mask:0xf// 00000000805C: 7E2002FA FF00B14C
	v_mfma_f32_16x16x16_f16 v[216:219], v[108:109], v[148:149], v[216:219]// 000000008064: D3CD00D8 0763296C
	ds_write_b32 v18, v51 offset:20256                         // 00000000806C: D81A4F20 00003312
	v_mfma_f32_16x16x16_f16 v[220:223], v[110:111], v[148:149], v[220:223]// 000000008074: D3CD00DC 0773296E
	v_perm_b32 v52, v16, v76, v15                              // 00000000807C: D1ED0034 043E9910
	v_mov_b32_dpp v16, v77 quad_perm:[1,0,3,2] row_mask:0xf bank_mask:0xf// 000000008084: 7E2002FA FF00B14D
	v_perm_b32 v53, v16, v77, v15                              // 00000000808C: D1ED0035 043E9B10
	v_mfma_f32_16x16x16_f16 v[224:227], v[112:113], v[148:149], v[224:227]// 000000008094: D3CD00E0 07832970
	ds_write_b32 v18, v52 offset:22016                         // 00000000809C: D81A5600 00003412
	ds_write_b32 v18, v53 offset:22560                         // 0000000080A4: D81A5820 00003512
	v_mfma_f32_16x16x16_f16 v[228:231], v[114:115], v[148:149], v[228:231]// 0000000080AC: D3CD00E4 07932972
	v_mfma_f32_16x16x16_f16 v[232:235], v[116:117], v[148:149], v[232:235]// 0000000080B4: D3CD00E8 07A32974
	ds_write_b32 v13, v84 offset:4352                          // 0000000080BC: D81A1100 0000540D
	ds_write_b32 v13, v85 offset:5408                          // 0000000080C4: D81A1520 0000550D
	v_mfma_f32_16x16x16_f16 v[236:239], v[118:119], v[148:149], v[236:239]// 0000000080CC: D3CD00EC 07B32976
	v_mfma_f32_16x16x16_f16 v[240:243], v[120:121], v[148:149], v[240:243]// 0000000080D4: D3CD00F0 07C32978
	ds_write_b32 v13, v86 offset:4480                          // 0000000080DC: D81A1180 0000560D
	ds_write_b32 v13, v87 offset:5536                          // 0000000080E4: D81A15A0 0000570D
	v_mfma_f32_16x16x16_f16 v[244:247], v[122:123], v[148:149], v[244:247]// 0000000080EC: D3CD00F4 07D3297A
	s_nop 0                                                    // 0000000080F4: BF800000
	s_nop 0                                                    // 0000000080F8: BF800000
	s_nop 0                                                    // 0000000080FC: BF800000
	s_barrier                                                  // 000000008100: BF8A0000
	v_mfma_f32_16x16x16_f16 a[160:163], a[144:145], v[72:73], a[160:163]// 000000008104: D3CD80A0 0E829190
	ds_read_b32 v124, v21 offset:51200                         // 00000000810C: D86CC800 7C000015
	ds_read_b32 v150, v21 offset:51456                         // 000000008114: D86CC900 96000015
	v_mfma_f32_16x16x16_f16 a[164:167], a[146:147], v[72:73], a[164:167]// 00000000811C: D3CD80A4 0E929192
	buffer_atomic_add_f32 v136, v7, s[32:35], 0 offen          // 000000008124: E1341000 80088807
	v_mfma_f32_16x16x16_f16 a[168:171], a[148:149], v[72:73], a[168:171]// 00000000812C: D3CD80A8 0EA29194
	s_waitcnt lgkmcnt(6)                                       // 000000008134: BF8CC67F
	s_barrier                                                  // 000000008138: BF8A0000
	v_mfma_f32_16x16x16_f16 a[172:175], a[150:151], v[72:73], a[172:175]// 00000000813C: D3CD80AC 0EB29196
	v_mfma_f32_16x16x16_f16 a[176:179], a[152:153], v[72:73], a[176:179]// 000000008144: D3CD80B0 0EC29198
	ds_read_b128 v[48:51], v17 offset:17408                    // 00000000814C: D9FE4400 30000011
	v_mfma_f32_16x16x16_f16 a[180:183], a[154:155], v[72:73], a[180:183]// 000000008154: D3CD80B4 0ED2919A
	v_mfma_f32_16x16x16_f16 a[184:187], a[156:157], v[72:73], a[184:187]// 00000000815C: D3CD80B8 0EE2919C
	ds_read_b128 v[52:55], v17 offset:18560                    // 000000008164: D9FE4880 34000011
	v_mfma_f32_16x16x16_f16 a[188:191], a[158:159], v[72:73], a[188:191]// 00000000816C: D3CD80BC 0EF2919E
	buffer_atomic_add_f32 v137, v8, s[32:35], 0 offen          // 000000008174: E1341000 80088908
	v_mfma_f32_16x16x16_f16 a[192:195], a[144:145], v[74:75], a[192:195]// 00000000817C: D3CD80C0 0F029590
	ds_read_b128 v[56:59], v17 offset:19712                    // 000000008184: D9FE4D00 38000011
	v_mfma_f32_16x16x16_f16 a[196:199], a[146:147], v[74:75], a[196:199]// 00000000818C: D3CD80C4 0F129592
	v_mfma_f32_16x16x16_f16 a[200:203], a[148:149], v[74:75], a[200:203]// 000000008194: D3CD80C8 0F229594
	ds_read_b128 v[60:63], v17 offset:20864                    // 00000000819C: D9FE5180 3C000011
	v_mfma_f32_16x16x16_f16 a[204:207], a[150:151], v[74:75], a[204:207]// 0000000081A4: D3CD80CC 0F329596
	v_mfma_f32_16x16x16_f16 a[208:211], a[152:153], v[74:75], a[208:211]// 0000000081AC: D3CD80D0 0F429598
	ds_read_b128 v[64:67], v17 offset:22016                    // 0000000081B4: D9FE5600 40000011
	v_mfma_f32_16x16x16_f16 a[212:215], a[154:155], v[74:75], a[212:215]// 0000000081BC: D3CD80D4 0F52959A
	buffer_atomic_add_f32 v138, v7, s[32:35], 0 offen offset:128// 0000000081C4: E1341080 80088A07
	v_mfma_f32_16x16x16_f16 a[216:219], a[156:157], v[74:75], a[216:219]// 0000000081CC: D3CD80D8 0F62959C
	ds_read_b128 v[68:71], v17 offset:23168                    // 0000000081D4: D9FE5A80 44000011
	v_mfma_f32_16x16x16_f16 a[220:223], a[158:159], v[74:75], a[220:223]// 0000000081DC: D3CD80DC 0F72959E
	v_mfma_f32_16x16x16_f16 a[224:227], a[144:145], v[76:77], a[224:227]// 0000000081E4: D3CD80E0 0F829990
	ds_write_b32 v13, v88 offset:13056                         // 0000000081EC: D81A3300 0000580D
	v_mfma_f32_16x16x16_f16 a[228:231], a[146:147], v[76:77], a[228:231]// 0000000081F4: D3CD80E4 0F929992
	v_mfma_f32_16x16x16_f16 a[232:235], a[148:149], v[76:77], a[232:235]// 0000000081FC: D3CD80E8 0FA29994
	ds_write_b32 v13, v89 offset:14112                         // 000000008204: D81A3720 0000590D
	v_mfma_f32_16x16x16_f16 a[236:239], a[150:151], v[76:77], a[236:239]// 00000000820C: D3CD80EC 0FB29996
	buffer_atomic_add_f32 v139, v8, s[32:35], 0 offen offset:128// 000000008214: E1341080 80088B08
	v_mfma_f32_16x16x16_f16 a[240:243], a[152:153], v[76:77], a[240:243]// 00000000821C: D3CD80F0 0FC29998
	ds_write_b32 v13, v90 offset:13184                         // 000000008224: D81A3380 00005A0D
	v_mfma_f32_16x16x16_f16 a[244:247], a[154:155], v[76:77], a[244:247]// 00000000822C: D3CD80F4 0FD2999A
	v_mfma_f32_16x16x16_f16 a[248:251], a[156:157], v[76:77], a[248:251]// 000000008234: D3CD80F8 0FE2999C
	ds_write_b32 v13, v91 offset:14240                         // 00000000823C: D81A37A0 00005B0D
	v_mfma_f32_16x16x16_f16 a[252:255], a[158:159], v[76:77], a[252:255]// 000000008244: D3CD80FC 0FF2999E
	s_waitcnt vmcnt(8) lgkmcnt(4)                              // 00000000824C: BF8C0478
	s_barrier                                                  // 000000008250: BF8A0000
	v_mfma_f32_16x16x16_f16 v[128:131], v[48:49], a[48:49], 0  // 000000008254: D3CD0080 12026130
	ds_read_b128 a[144:147], v10                               // 00000000825C: DBFE0000 9000000A
	buffer_load_dword v36, v1, s[8:11], 0 idxen                // 000000008264: E0502000 80022401
	v_mfma_f32_16x16x16_f16 v[128:131], v[50:51], a[52:53], v[128:131]// 00000000826C: D3CD0080 16026932
	v_mul_f32_e32 v124, s48, v124                              // 000000008274: 0AF8F830
	s_nop 0                                                    // 000000008278: BF800000
	v_mfma_f32_16x16x16_f16 v[128:131], v[52:53], a[56:57], v[128:131]// 00000000827C: D3CD0080 16027134
	ds_read_b128 a[148:151], v10 offset:512                    // 000000008284: DBFE0200 9400000A
	buffer_load_dword v37, v2, s[8:11], 0 idxen                // 00000000828C: E0502000 80022502
	v_mfma_f32_16x16x16_f16 v[128:131], v[54:55], a[60:61], v[128:131]// 000000008294: D3CD0080 16027936
	v_mfma_f32_16x16x16_f16 v[128:131], v[56:57], a[64:65], v[128:131]// 00000000829C: D3CD0080 16028138
	ds_read_b128 a[152:155], v10 offset:2176                   // 0000000082A4: DBFE0880 9800000A
	buffer_load_dword v38, v3, s[8:11], 0 idxen                // 0000000082AC: E0502000 80022603
	v_mfma_f32_16x16x16_f16 v[128:131], v[58:59], a[68:69], v[128:131]// 0000000082B4: D3CD0080 1602893A
	v_perm_b32 v84, v33, v32, s63                              // 0000000082BC: D1ED0054 00FE4121
	v_perm_b32 v85, v33, v32, s64                              // 0000000082C4: D1ED0055 01024121
	v_mfma_f32_16x16x16_f16 v[128:131], v[60:61], a[72:73], v[128:131]// 0000000082CC: D3CD0080 1602913C
	ds_read_b128 a[156:159], v10 offset:2688                   // 0000000082D4: DBFE0A80 9C00000A
	buffer_load_dword v39, v4, s[8:11], 0 idxen                // 0000000082DC: E0502000 80022704
	v_mfma_f32_16x16x16_f16 v[128:131], v[62:63], a[76:77], v[128:131]// 0000000082E4: D3CD0080 1602993E
	v_perm_b32 v86, v35, v34, s63                              // 0000000082EC: D1ED0056 00FE4523
	v_perm_b32 v87, v35, v34, s64                              // 0000000082F4: D1ED0057 01024523
	v_mfma_f32_16x16x16_f16 v[128:131], v[64:65], a[80:81], v[128:131]// 0000000082FC: D3CD0080 1602A140
	ds_read_b128 v[92:95], v10 offset:8704                     // 000000008304: D9FE2200 5C00000A
	buffer_load_dword v44, v248, s[20:23], 0 idxen             // 00000000830C: E0502000 80052CF8
	v_mfma_f32_16x16x16_f16 v[128:131], v[66:67], a[84:85], v[128:131]// 000000008314: D3CD0080 1602A942
	v_perm_b32 v88, v41, v40, s63                              // 00000000831C: D1ED0058 00FE5129
	v_perm_b32 v89, v41, v40, s64                              // 000000008324: D1ED0059 01025129
	v_mfma_f32_16x16x16_f16 v[128:131], v[68:69], a[88:89], v[128:131]// 00000000832C: D3CD0080 1602B144
	ds_read_b128 v[96:99], v10 offset:9216                     // 000000008334: D9FE2400 6000000A
	buffer_load_dword v45, v249, s[20:23], 0 idxen             // 00000000833C: E0502000 80052DF9
	v_mfma_f32_16x16x16_f16 v[128:131], v[70:71], a[92:93], v[128:131]// 000000008344: D3CD0080 1602B946
	v_perm_b32 v90, v43, v42, s63                              // 00000000834C: D1ED005A 00FE552B
	v_perm_b32 v91, v43, v42, s64                              // 000000008354: D1ED005B 0102552B
	v_mfma_f32_16x16x16_f16 v[132:135], v[48:49], a[50:51], 0  // 00000000835C: D3CD0084 12026530
	ds_read_b128 v[100:103], v10 offset:10880                  // 000000008364: D9FE2A80 6400000A
	buffer_load_dword v46, v250, s[20:23], 0 idxen             // 00000000836C: E0502000 80052EFA
	v_mfma_f32_16x16x16_f16 v[132:135], v[50:51], a[54:55], v[132:135]// 000000008374: D3CD0084 16126D32
	v_mov_b32_dpp v127, v124 quad_perm:[3,3,3,3] row_mask:0xf bank_mask:0xf// 00000000837C: 7EFE02FA FF00FF7C
	v_mov_b32_dpp v126, v124 quad_perm:[2,2,2,2] row_mask:0xf bank_mask:0xf// 000000008384: 7EFC02FA FF00AA7C
	v_mfma_f32_16x16x16_f16 v[132:135], v[52:53], a[58:59], v[132:135]// 00000000838C: D3CD0084 16127534
	ds_read_b128 v[104:107], v10 offset:11392                  // 000000008394: D9FE2C80 6800000A
	buffer_load_dword v47, v251, s[20:23], 0 idxen             // 00000000839C: E0502000 80052FFB
	v_mfma_f32_16x16x16_f16 v[132:135], v[54:55], a[62:63], v[132:135]// 0000000083A4: D3CD0084 16127D36
	v_mov_b32_dpp v125, v124 quad_perm:[1,1,1,1] row_mask:0xf bank_mask:0xf// 0000000083AC: 7EFA02FA FF00557C
	v_mov_b32_dpp v124, v124 quad_perm:[0,0,0,0] row_mask:0xf bank_mask:0xf// 0000000083B4: 7EF802FA FF00007C
	s_add_u32 s60, 64, s59                                     // 0000000083BC: 803C3BC0
	v_mfma_f32_16x16x16_f16 v[132:135], v[56:57], a[66:67], v[132:135]// 0000000083C0: D3CD0084 16128538
	buffer_load_dword v9, s[24:27], 0 idxen lds                // 0000000083C8: E0512000 80060009
	v_mfma_f32_16x16x16_f16 v[132:135], v[58:59], a[70:71], v[132:135]// 0000000083D0: D3CD0084 16128D3A
	s_cmp_lt_u32 s60, s58                                      // 0000000083D8: BF0A3A3C
	s_cselect_b32 s68, s68, 0                                  // 0000000083DC: 85448044
	s_cselect_b32 s100, s100, 0                                // 0000000083E0: 85648064
	s_cselect_b32 s69, s69, 0                                  // 0000000083E4: 85458045
	v_mfma_f32_16x16x16_f16 v[132:135], v[60:61], a[74:75], v[132:135]// 0000000083E8: D3CD0084 1612953C
	v_add_u32_e32 v1, s68, v1                                  // 0000000083F0: 68020244
	v_add_u32_e32 v2, s68, v2                                  // 0000000083F4: 68040444
	v_add_u32_e32 v3, s68, v3                                  // 0000000083F8: 68060644
	v_add_u32_e32 v4, s68, v4                                  // 0000000083FC: 68080844
	v_mfma_f32_16x16x16_f16 v[132:135], v[62:63], a[78:79], v[132:135]// 000000008400: D3CD0084 16129D3E
	v_add_u32_e32 v248, s100, v248                             // 000000008408: 69F1F064
	v_add_u32_e32 v249, s100, v249                             // 00000000840C: 69F3F264
	v_add_u32_e32 v250, s100, v250                             // 000000008410: 69F5F464
	v_add_u32_e32 v251, s100, v251                             // 000000008414: 69F7F664
	v_mfma_f32_16x16x16_f16 v[132:135], v[64:65], a[82:83], v[132:135]// 000000008418: D3CD0084 1612A540
	s_mov_b32 m0, s78                                          // 000000008420: BEFC004E
	v_add_u32_e32 v9, s69, v9                                  // 000000008424: 68121245
	v_mfma_f32_16x16x16_f16 v[132:135], v[66:67], a[86:87], v[132:135]// 000000008428: D3CD0084 1612AD42
	s_cmp_ge_u32 s59, s73                                      // 000000008430: BF09493B
	s_cselect_b32 s66, s67, s66                                // 000000008434: 85424243
	v_mfma_f32_16x16x16_f16 v[132:135], v[68:69], a[90:91], v[132:135]// 000000008438: D3CD0084 1612B544
	s_addk_i32 s59, 0x10                                       // 000000008440: B73B0010
	s_nop 0                                                    // 000000008444: BF800000
	s_cmp_lt_i32 s59, s58                                      // 000000008448: BF043A3B
	v_mfma_f32_16x16x16_f16 v[132:135], v[70:71], a[94:95], v[132:135]// 00000000844C: D3CD0084 1612BD46
	s_cbranch_scc0 label_0E94                                  // 000000008454: BF84FCF4
	s_waitcnt lgkmcnt(0)                                       // 000000008458: BF8CC07F
	s_barrier                                                  // 00000000845C: BF8A0000
	v_mfma_f32_16x16x16_f16 v[48:51], a[144:145], a[0:1], 0    // 000000008460: D3CD0030 1A020190
	v_mul_f32_e32 v128, s47, v128                              // 000000008468: 0B01002F
	v_mul_f32_e32 v129, s47, v129                              // 00000000846C: 0B03022F
	v_mfma_f32_16x16x16_f16 v[48:51], a[146:147], a[2:3], v[48:51]// 000000008470: D3CD0030 1CC20592
	ds_write_b32 v11, v40 offset:8704                          // 000000008478: D81A2200 0000280B
	ds_write_b32 v11, v41 offset:9760                          // 000000008480: D81A2620 0000290B
	v_mfma_f32_16x16x16_f16 v[48:51], a[148:149], a[4:5], v[48:51]// 000000008488: D3CD0030 1CC20994
	v_mul_f32_e32 v130, s47, v130                              // 000000008490: 0B05042F
	v_mul_f32_e32 v131, s47, v131                              // 000000008494: 0B07062F
	v_mfma_f32_16x16x16_f16 v[48:51], a[150:151], a[6:7], v[48:51]// 000000008498: D3CD0030 1CC20D96
	ds_write_b32 v11, v42 offset:8832                          // 0000000084A0: D81A2280 00002A0B
	ds_write_b32 v11, v43 offset:9888                          // 0000000084A8: D81A26A0 00002B0B
	v_mfma_f32_16x16x16_f16 v[48:51], a[152:153], a[8:9], v[48:51]// 0000000084B0: D3CD0030 1CC21198
	v_mul_f32_e32 v132, s47, v132                              // 0000000084B8: 0B09082F
	v_mul_f32_e32 v133, s47, v133                              // 0000000084BC: 0B0B0A2F
	v_mfma_f32_16x16x16_f16 v[48:51], a[154:155], a[10:11], v[48:51]// 0000000084C0: D3CD0030 1CC2159A
	ds_write_b64 v20, v[128:129] offset:24320                  // 0000000084C8: D89A5F00 00008014
	v_mfma_f32_16x16x16_f16 v[48:51], a[156:157], a[12:13], v[48:51]// 0000000084D0: D3CD0030 1CC2199C
	v_mul_f32_e32 v134, s47, v134                              // 0000000084D8: 0B0D0C2F
	v_mul_f32_e32 v135, s47, v135                              // 0000000084DC: 0B0F0E2F
	v_mfma_f32_16x16x16_f16 v[48:51], a[158:159], a[14:15], v[48:51]// 0000000084E0: D3CD0030 1CC21D9E
	ds_write_b64 v20, v[130:131] offset:24832                  // 0000000084E8: D89A6100 00008214
	v_mfma_f32_16x16x16_f16 v[52:55], a[144:145], a[16:17], 0  // 0000000084F0: D3CD0034 1A022190
	buffer_atomic_add_f32 v140, v7, s[32:35], 0 offen offset:256// 0000000084F8: E1341100 80088C07
	v_mfma_f32_16x16x16_f16 v[52:55], a[146:147], a[18:19], v[52:55]// 000000008500: D3CD0034 1CD22592
	ds_write_b64 v20, v[132:133] offset:25344                  // 000000008508: D89A6300 00008414
	v_mfma_f32_16x16x16_f16 v[52:55], a[148:149], a[20:21], v[52:55]// 000000008510: D3CD0034 1CD22994
	v_mfma_f32_16x16x16_f16 v[52:55], a[150:151], a[22:23], v[52:55]// 000000008518: D3CD0034 1CD22D96
	ds_write_b64 v20, v[134:135] offset:25856                  // 000000008520: D89A6500 00008614
	v_mfma_f32_16x16x16_f16 v[52:55], a[152:153], a[24:25], v[52:55]// 000000008528: D3CD0034 1CD23198
	buffer_atomic_add_f32 v141, v8, s[32:35], 0 offen offset:256// 000000008530: E1341100 80088D08
	v_mfma_f32_16x16x16_f16 v[52:55], a[154:155], a[26:27], v[52:55]// 000000008538: D3CD0034 1CD2359A
	ds_read_b128 v[108:111], v12 offset:13056                  // 000000008540: D9FE3300 6C00000C
	ds_write_b32 v11, v32                                      // 000000008548: D81A0000 0000200B
	v_mfma_f32_16x16x16_f16 v[52:55], a[156:157], a[28:29], v[52:55]// 000000008550: D3CD0034 1CD2399C
	v_mfma_f32_16x16x16_f16 v[52:55], a[158:159], a[30:31], v[52:55]// 000000008558: D3CD0034 1CD23D9E
	v_mfma_f32_16x16x16_f16 v[56:59], a[144:145], a[32:33], 0  // 000000008560: D3CD0038 1A024190
	ds_read_b128 v[112:115], v12 offset:13568                  // 000000008568: D9FE3500 7000000C
	ds_write_b32 v11, v33 offset:1056                          // 000000008570: D81A0420 0000210B
	v_mfma_f32_16x16x16_f16 v[56:59], a[146:147], a[34:35], v[56:59]// 000000008578: D3CD0038 1CE24592
	buffer_atomic_add_f32 v142, v7, s[32:35], 0 offen offset:384// 000000008580: E1341180 80088E07
	v_mfma_f32_16x16x16_f16 v[56:59], a[148:149], a[36:37], v[56:59]// 000000008588: D3CD0038 1CE24994
	v_mfma_f32_16x16x16_f16 v[56:59], a[150:151], a[38:39], v[56:59]// 000000008590: D3CD0038 1CE24D96
	ds_read_b128 v[116:119], v12 offset:15232                  // 000000008598: D9FE3B80 7400000C
	ds_write_b32 v11, v34 offset:128                           // 0000000085A0: D81A0080 0000220B
	v_mfma_f32_16x16x16_f16 v[56:59], a[152:153], a[40:41], v[56:59]// 0000000085A8: D3CD0038 1CE25198
	v_mfma_f32_16x16x16_f16 v[56:59], a[154:155], a[42:43], v[56:59]// 0000000085B0: D3CD0038 1CE2559A
	buffer_atomic_add_f32 v143, v8, s[32:35], 0 offen offset:384// 0000000085B8: E1341180 80088F08
	v_mfma_f32_16x16x16_f16 v[56:59], a[156:157], a[44:45], v[56:59]// 0000000085C0: D3CD0038 1CE2599C
	ds_read_b128 v[120:123], v12 offset:15744                  // 0000000085C8: D9FE3D80 7800000C
	ds_write_b32 v11, v35 offset:1184                          // 0000000085D0: D81A04A0 0000230B
	v_mfma_f32_16x16x16_f16 v[56:59], a[158:159], a[46:47], v[56:59]// 0000000085D8: D3CD0038 1CE25D9E
	s_cmp_lt_i32 s74, 12                                       // 0000000085E0: BF048C4A
	s_cbranch_scc0 label_127E                                  // 0000000085E4: BF840075
	s_mov_b32 s60, 0xffe0fffe                                  // 0000000085E8: BEBC00FF FFE0FFFE
	s_mov_b32 s61, 0xe000fe00                                  // 0000000085F0: BEBD00FF E000FE00
	s_nop 0                                                    // 0000000085F8: BF800000
	s_add_u32 s62, 0, s46                                      // 0000000085FC: 803E2E80
	s_cmp_lt_i32 s74, s62                                      // 000000008600: BF043E4A
	s_cbranch_scc1 label_1239                                  // 000000008604: BF850028
	s_cmp_eq_i32 s74, s62                                      // 000000008608: BF003E4A
	s_cbranch_scc1 label_121E                                  // 00000000860C: BF85000B
	s_add_u32 s62, 4, s46                                      // 000000008610: 803E2E84
	s_cmp_lt_i32 s74, s62                                      // 000000008614: BF043E4A
	s_cbranch_scc1 label_1259                                  // 000000008618: BF850043
	s_cmp_eq_i32 s74, s62                                      // 00000000861C: BF003E4A
	s_cbranch_scc1 label_123E                                  // 000000008620: BF850026
	s_add_u32 s62, 8, s46                                      // 000000008624: 803E2E88
	s_cmp_lt_i32 s74, s62                                      // 000000008628: BF043E4A
	s_cbranch_scc1 label_1279                                  // 00000000862C: BF85005E
	s_cmp_eq_i32 s74, s62                                      // 000000008630: BF003E4A
	s_cbranch_scc1 label_125E                                  // 000000008634: BF850041
	s_branch label_127E                                        // 000000008638: BF820060

000000000000863c <label_121E>:
	v_cndmask_b32_e64 v48, v48, v151, s[60:61]                 // 00000000863C: D1000030 00F32F30
	s_lshl_b32 s60, s60, 1                                     // 000000008644: 8E3C813C
	s_lshl_b32 s61, s61, 1                                     // 000000008648: 8E3D813D
	s_and_b32 s60, 0xfffeffff, s60                             // 00000000864C: 863C3CFF FFFEFFFF
	s_and_b32 s61, 0xfffeffff, s61                             // 000000008654: 863D3DFF FFFEFFFF
	v_cndmask_b32_e64 v49, v49, v151, s[60:61]                 // 00000000865C: D1000031 00F32F31
	s_lshl_b32 s60, s60, 1                                     // 000000008664: 8E3C813C
	s_lshl_b32 s61, s61, 1                                     // 000000008668: 8E3D813D
	s_and_b32 s60, 0xfffeffff, s60                             // 00000000866C: 863C3CFF FFFEFFFF
	s_and_b32 s61, 0xfffeffff, s61                             // 000000008674: 863D3DFF FFFEFFFF
	v_cndmask_b32_e64 v50, v50, v151, s[60:61]                 // 00000000867C: D1000032 00F32F32
	s_lshl_b32 s60, s60, 1                                     // 000000008684: 8E3C813C
	s_lshl_b32 s61, s61, 1                                     // 000000008688: 8E3D813D
	s_and_b32 s60, 0xfffeffff, s60                             // 00000000868C: 863C3CFF FFFEFFFF
	s_and_b32 s61, 0xfffeffff, s61                             // 000000008694: 863D3DFF FFFEFFFF
	v_cndmask_b32_e64 v51, v51, v151, s[60:61]                 // 00000000869C: D1000033 00F32F33
	s_branch label_1259                                        // 0000000086A4: BF820020

00000000000086a8 <label_1239>:
	v_mov_b32_e32 v48, v151                                    // 0000000086A8: 7E600397
	v_mov_b32_e32 v49, v151                                    // 0000000086AC: 7E620397
	v_mov_b32_e32 v50, v151                                    // 0000000086B0: 7E640397
	v_mov_b32_e32 v51, v151                                    // 0000000086B4: 7E660397
	s_branch label_1259                                        // 0000000086B8: BF82001B

00000000000086bc <label_123E>:
	v_cndmask_b32_e64 v52, v52, v151, s[60:61]                 // 0000000086BC: D1000034 00F32F34
	s_lshl_b32 s60, s60, 1                                     // 0000000086C4: 8E3C813C
	s_lshl_b32 s61, s61, 1                                     // 0000000086C8: 8E3D813D
	s_and_b32 s60, 0xfffeffff, s60                             // 0000000086CC: 863C3CFF FFFEFFFF
	s_and_b32 s61, 0xfffeffff, s61                             // 0000000086D4: 863D3DFF FFFEFFFF
	v_cndmask_b32_e64 v53, v53, v151, s[60:61]                 // 0000000086DC: D1000035 00F32F35
	s_lshl_b32 s60, s60, 1                                     // 0000000086E4: 8E3C813C
	s_lshl_b32 s61, s61, 1                                     // 0000000086E8: 8E3D813D
	s_and_b32 s60, 0xfffeffff, s60                             // 0000000086EC: 863C3CFF FFFEFFFF
	s_and_b32 s61, 0xfffeffff, s61                             // 0000000086F4: 863D3DFF FFFEFFFF
	v_cndmask_b32_e64 v54, v54, v151, s[60:61]                 // 0000000086FC: D1000036 00F32F36
	s_lshl_b32 s60, s60, 1                                     // 000000008704: 8E3C813C
	s_lshl_b32 s61, s61, 1                                     // 000000008708: 8E3D813D
	s_and_b32 s60, 0xfffeffff, s60                             // 00000000870C: 863C3CFF FFFEFFFF
	s_and_b32 s61, 0xfffeffff, s61                             // 000000008714: 863D3DFF FFFEFFFF
	v_cndmask_b32_e64 v55, v55, v151, s[60:61]                 // 00000000871C: D1000037 00F32F37
	s_branch label_1279                                        // 000000008724: BF820020

0000000000008728 <label_1259>:
	v_mov_b32_e32 v52, v151                                    // 000000008728: 7E680397
	v_mov_b32_e32 v53, v151                                    // 00000000872C: 7E6A0397
	v_mov_b32_e32 v54, v151                                    // 000000008730: 7E6C0397
	v_mov_b32_e32 v55, v151                                    // 000000008734: 7E6E0397
	s_branch label_1279                                        // 000000008738: BF82001B

000000000000873c <label_125E>:
	v_cndmask_b32_e64 v56, v56, v151, s[60:61]                 // 00000000873C: D1000038 00F32F38
	s_lshl_b32 s60, s60, 1                                     // 000000008744: 8E3C813C
	s_lshl_b32 s61, s61, 1                                     // 000000008748: 8E3D813D
	s_and_b32 s60, 0xfffeffff, s60                             // 00000000874C: 863C3CFF FFFEFFFF
	s_and_b32 s61, 0xfffeffff, s61                             // 000000008754: 863D3DFF FFFEFFFF
	v_cndmask_b32_e64 v57, v57, v151, s[60:61]                 // 00000000875C: D1000039 00F32F39
	s_lshl_b32 s60, s60, 1                                     // 000000008764: 8E3C813C
	s_lshl_b32 s61, s61, 1                                     // 000000008768: 8E3D813D
	s_and_b32 s60, 0xfffeffff, s60                             // 00000000876C: 863C3CFF FFFEFFFF
	s_and_b32 s61, 0xfffeffff, s61                             // 000000008774: 863D3DFF FFFEFFFF
	v_cndmask_b32_e64 v58, v58, v151, s[60:61]                 // 00000000877C: D100003A 00F32F3A
	s_lshl_b32 s60, s60, 1                                     // 000000008784: 8E3C813C
	s_lshl_b32 s61, s61, 1                                     // 000000008788: 8E3D813D
	s_and_b32 s60, 0xfffeffff, s60                             // 00000000878C: 863C3CFF FFFEFFFF
	s_and_b32 s61, 0xfffeffff, s61                             // 000000008794: 863D3DFF FFFEFFFF
	v_cndmask_b32_e64 v59, v59, v151, s[60:61]                 // 00000000879C: D100003B 00F32F3B
	s_branch label_127E                                        // 0000000087A4: BF820005

00000000000087a8 <label_1279>:
	v_mov_b32_e32 v56, v151                                    // 0000000087A8: 7E700397
	v_mov_b32_e32 v57, v151                                    // 0000000087AC: 7E720397
	v_mov_b32_e32 v58, v151                                    // 0000000087B0: 7E740397
	v_mov_b32_e32 v59, v151                                    // 0000000087B4: 7E760397
	s_branch label_127E                                        // 0000000087B8: BF820000

00000000000087bc <label_127E>:
	s_cmp_lt_i32 s84, 0xc0                                     // 0000000087BC: BF04FF54 000000C0
	s_cbranch_scc0 label_12D3                                  // 0000000087C4: BF84004D
	s_cmp_le_i32 s84, 64                                       // 0000000087C8: BF05C054
	s_cbranch_scc1 label_128A                                  // 0000000087CC: BF850007
	s_cmp_le_i32 s84, 0x80                                     // 0000000087D0: BF05FF54 00000080
	s_cbranch_scc1 label_12A2                                  // 0000000087D8: BF850017
	s_cmp_lt_i32 s84, 0xc0                                     // 0000000087DC: BF04FF54 000000C0
	s_cbranch_scc1 label_12BA                                  // 0000000087E4: BF85002C
	s_branch label_12D3                                        // 0000000087E8: BF820044

00000000000087ec <label_128A>:
	s_mov_b32 s60, 0                                           // 0000000087EC: BEBC0080
	v_and_b32_e32 v28, 15, v0                                  // 0000000087F0: 2638008F
	v_add_u32_e64 v28, v28, s60                                // 0000000087F4: D134001C 0000791C
	v_mul_i32_i24_e64 v29, s46, 16                             // 0000000087FC: D106001D 0001202E
	v_add_u32_e32 v28, v28, v29                                // 000000008804: 68383B1C
	v_cmp_lt_u32_e64 s[60:61], v28, s84                        // 000000008808: D0C9003C 0000A91C
	s_nop 1                                                    // 000000008810: BF800001
	v_cndmask_b32_e64 v48, v151, v48, s[60:61]                 // 000000008814: D1000030 00F26197
	v_cndmask_b32_e64 v49, v151, v49, s[60:61]                 // 00000000881C: D1000031 00F26397
	v_cndmask_b32_e64 v50, v151, v50, s[60:61]                 // 000000008824: D1000032 00F26597
	v_cndmask_b32_e64 v51, v151, v51, s[60:61]                 // 00000000882C: D1000033 00F26797
	s_branch label_12B5                                        // 000000008834: BF820013

0000000000008838 <label_12A2>:
	s_mov_b32 s60, 64                                          // 000000008838: BEBC00C0
	v_and_b32_e32 v28, 15, v0                                  // 00000000883C: 2638008F
	v_add_u32_e64 v28, v28, s60                                // 000000008840: D134001C 0000791C
	v_mul_i32_i24_e64 v29, s46, 16                             // 000000008848: D106001D 0001202E
	v_add_u32_e32 v28, v28, v29                                // 000000008850: 68383B1C
	v_cmp_lt_u32_e64 s[60:61], v28, s84                        // 000000008854: D0C9003C 0000A91C
	s_nop 1                                                    // 00000000885C: BF800001
	v_cndmask_b32_e64 v52, v151, v52, s[60:61]                 // 000000008860: D1000034 00F26997
	v_cndmask_b32_e64 v53, v151, v53, s[60:61]                 // 000000008868: D1000035 00F26B97
	v_cndmask_b32_e64 v54, v151, v54, s[60:61]                 // 000000008870: D1000036 00F26D97
	v_cndmask_b32_e64 v55, v151, v55, s[60:61]                 // 000000008878: D1000037 00F26F97
	s_branch label_12CE                                        // 000000008880: BF820019

0000000000008884 <label_12B5>:
	v_mov_b32_e32 v52, v151                                    // 000000008884: 7E680397
	v_mov_b32_e32 v53, v151                                    // 000000008888: 7E6A0397
	v_mov_b32_e32 v54, v151                                    // 00000000888C: 7E6C0397
	v_mov_b32_e32 v55, v151                                    // 000000008890: 7E6E0397
	s_branch label_12CE                                        // 000000008894: BF820014

0000000000008898 <label_12BA>:
	s_mov_b32 s60, 0x80                                        // 000000008898: BEBC00FF 00000080
	v_and_b32_e32 v28, 15, v0                                  // 0000000088A0: 2638008F
	v_add_u32_e64 v28, v28, s60                                // 0000000088A4: D134001C 0000791C
	v_mul_i32_i24_e64 v29, s46, 16                             // 0000000088AC: D106001D 0001202E
	v_add_u32_e32 v28, v28, v29                                // 0000000088B4: 68383B1C
	v_cmp_lt_u32_e64 s[60:61], v28, s84                        // 0000000088B8: D0C9003C 0000A91C
	s_nop 1                                                    // 0000000088C0: BF800001
	v_cndmask_b32_e64 v56, v151, v56, s[60:61]                 // 0000000088C4: D1000038 00F27197
	v_cndmask_b32_e64 v57, v151, v57, s[60:61]                 // 0000000088CC: D1000039 00F27397
	v_cndmask_b32_e64 v58, v151, v58, s[60:61]                 // 0000000088D4: D100003A 00F27597
	v_cndmask_b32_e64 v59, v151, v59, s[60:61]                 // 0000000088DC: D100003B 00F27797
	s_branch label_12D3                                        // 0000000088E4: BF820005

00000000000088e8 <label_12CE>:
	v_mov_b32_e32 v56, v151                                    // 0000000088E8: 7E700397
	v_mov_b32_e32 v57, v151                                    // 0000000088EC: 7E720397
	v_mov_b32_e32 v58, v151                                    // 0000000088F0: 7E740397
	v_mov_b32_e32 v59, v151                                    // 0000000088F4: 7E760397
	s_branch label_12D3                                        // 0000000088F8: BF820000

00000000000088fc <label_12D3>:
	s_addk_i32 s74, 0x1                                        // 0000000088FC: B74A0001
	s_waitcnt lgkmcnt(8)                                       // 000000008900: BF8CC87F
	s_barrier                                                  // 000000008904: BF8A0000
	v_mfma_f32_16x16x16_f16 v[72:75], v[92:93], a[96:97], 0    // 000000008908: D3CD0048 1202C15C
	v_fma_f32 v48, v48, s57, -v124                             // 000000008910: D1CB0030 85F07330
	v_fma_f32 v49, v49, s57, -v125                             // 000000008918: D1CB0031 85F47331
	v_fma_f32 v50, v50, s57, -v126                             // 000000008920: D1CB0032 85F87332
	v_mfma_f32_16x16x16_f16 v[72:75], v[94:95], a[98:99], v[72:75]// 000000008928: D3CD0048 1522C55E
	ds_read_b128 a[144:147], v12 offset:4352                   // 000000008930: DBFE1100 9000000C
	ds_read_b128 a[148:151], v12 offset:4864                   // 000000008938: DBFE1300 9400000C
	v_mfma_f32_16x16x16_f16 v[72:75], v[96:97], a[100:101], v[72:75]// 000000008940: D3CD0048 1522C960
	v_fma_f32 v51, v51, s57, -v127                             // 000000008948: D1CB0033 85FC7333
	v_fma_f32 v52, v52, s57, -v124                             // 000000008950: D1CB0034 85F07334
	v_fma_f32 v53, v53, s57, -v125                             // 000000008958: D1CB0035 85F47335
	v_mfma_f32_16x16x16_f16 v[72:75], v[98:99], a[102:103], v[72:75]// 000000008960: D3CD0048 1522CD62
	v_fma_f32 v54, v54, s57, -v126                             // 000000008968: D1CB0036 85F87336
	v_fma_f32 v55, v55, s57, -v127                             // 000000008970: D1CB0037 85FC7337
	v_fma_f32 v56, v56, s57, -v124                             // 000000008978: D1CB0038 85F07338
	v_mfma_f32_16x16x16_f16 v[72:75], v[100:101], a[104:105], v[72:75]// 000000008980: D3CD0048 1522D164
	v_fma_f32 v57, v57, s57, -v125                             // 000000008988: D1CB0039 85F47339
	v_fma_f32 v58, v58, s57, -v126                             // 000000008990: D1CB003A 85F8733A
	v_fma_f32 v59, v59, s57, -v127                             // 000000008998: D1CB003B 85FC733B
	v_mfma_f32_16x16x16_f16 v[72:75], v[102:103], a[106:107], v[72:75]// 0000000089A0: D3CD0048 1522D566
	ds_read_b128 a[152:155], v12 offset:6528                   // 0000000089A8: DBFE1980 9800000C
	ds_read_b128 a[156:159], v12 offset:7040                   // 0000000089B0: DBFE1B80 9C00000C
	v_mfma_f32_16x16x16_f16 v[72:75], v[104:105], a[108:109], v[72:75]// 0000000089B8: D3CD0048 1522D968
	v_exp_f32_e32 v48, v48                                     // 0000000089C0: 7E604130
	v_mfma_f32_16x16x16_f16 v[72:75], v[106:107], a[110:111], v[72:75]// 0000000089C4: D3CD0048 1522DD6A
	v_exp_f32_e32 v49, v49                                     // 0000000089CC: 7E624131
	v_mfma_f32_16x16x16_f16 v[76:79], v[92:93], a[112:113], 0  // 0000000089D0: D3CD004C 1202E15C
	v_exp_f32_e32 v50, v50                                     // 0000000089D8: 7E644132
	v_mfma_f32_16x16x16_f16 v[76:79], v[94:95], a[114:115], v[76:79]// 0000000089DC: D3CD004C 1532E55E
	ds_read_b64 v[136:137], v19 offset:24320                   // 0000000089E4: D8EC5F00 88000013
	ds_read_b64 v[138:139], v19 offset:26368                   // 0000000089EC: D8EC6700 8A000013
	v_mfma_f32_16x16x16_f16 v[76:79], v[96:97], a[116:117], v[76:79]// 0000000089F4: D3CD004C 1532E960
	v_exp_f32_e32 v51, v51                                     // 0000000089FC: 7E664133
	v_mfma_f32_16x16x16_f16 v[76:79], v[98:99], a[118:119], v[76:79]// 000000008A00: D3CD004C 1532ED62
	ds_read_b64 v[140:141], v19 offset:28416                   // 000000008A08: D8EC6F00 8C000013
	ds_read_b64 v[142:143], v19 offset:30464                   // 000000008A10: D8EC7700 8E000013
	v_mfma_f32_16x16x16_f16 v[76:79], v[100:101], a[120:121], v[76:79]// 000000008A18: D3CD004C 1532F164
	v_exp_f32_e32 v52, v52                                     // 000000008A20: 7E684134
	v_mfma_f32_16x16x16_f16 v[76:79], v[102:103], a[122:123], v[76:79]// 000000008A24: D3CD004C 1532F566
	v_exp_f32_e32 v53, v53                                     // 000000008A2C: 7E6A4135
	v_mfma_f32_16x16x16_f16 v[76:79], v[104:105], a[124:125], v[76:79]// 000000008A30: D3CD004C 1532F968
	v_exp_f32_e32 v54, v54                                     // 000000008A38: 7E6C4136
	v_mfma_f32_16x16x16_f16 v[76:79], v[106:107], a[126:127], v[76:79]// 000000008A3C: D3CD004C 1532FD6A
	v_exp_f32_e32 v55, v55                                     // 000000008A44: 7E6E4137
	v_mfma_f32_16x16x16_f16 v[80:83], v[92:93], a[128:129], 0  // 000000008A48: D3CD0050 1203015C
	v_exp_f32_e32 v56, v56                                     // 000000008A50: 7E704138
	v_mfma_f32_16x16x16_f16 v[80:83], v[94:95], a[130:131], v[80:83]// 000000008A54: D3CD0050 1543055E
	v_exp_f32_e32 v57, v57                                     // 000000008A5C: 7E724139
	v_mfma_f32_16x16x16_f16 v[80:83], v[96:97], a[132:133], v[80:83]// 000000008A60: D3CD0050 15430960
	v_exp_f32_e32 v58, v58                                     // 000000008A68: 7E74413A
	v_mfma_f32_16x16x16_f16 v[80:83], v[98:99], a[134:135], v[80:83]// 000000008A6C: D3CD0050 15430D62
	v_exp_f32_e32 v59, v59                                     // 000000008A74: 7E76413B
	v_mfma_f32_16x16x16_f16 v[80:83], v[100:101], a[136:137], v[80:83]// 000000008A78: D3CD0050 15431164
	v_cvt_pkrtz_f16_f32 v144, v48, v49                         // 000000008A80: D2960090 00026330
	v_cvt_pkrtz_f16_f32 v145, v50, v51                         // 000000008A88: D2960091 00026732
	v_cvt_pkrtz_f16_f32 v146, v52, v53                         // 000000008A90: D2960092 00026B34
	v_mfma_f32_16x16x16_f16 v[80:83], v[102:103], a[138:139], v[80:83]// 000000008A98: D3CD0050 15431566
	v_cvt_pkrtz_f16_f32 v147, v54, v55                         // 000000008AA0: D2960093 00026F36
	v_cvt_pkrtz_f16_f32 v148, v56, v57                         // 000000008AA8: D2960094 00027338
	v_cvt_pkrtz_f16_f32 v149, v58, v59                         // 000000008AB0: D2960095 0002773A
	v_mfma_f32_16x16x16_f16 v[80:83], v[104:105], a[140:141], v[80:83]// 000000008AB8: D3CD0050 15431968
	v_add_u32_e32 v7, s66, v7                                  // 000000008AC0: 680E0E42
	v_add_u32_e32 v8, s66, v8                                  // 000000008AC4: 68101042
	v_mfma_f32_16x16x16_f16 v[80:83], v[106:107], a[142:143], v[80:83]// 000000008AC8: D3CD0050 15431D6A
	s_waitcnt lgkmcnt(0)                                       // 000000008AD0: BF8CC07F
	s_barrier                                                  // 000000008AD4: BF8A0000
	v_mfma_f32_16x16x16_f16 v[152:155], v[108:109], v[144:145], v[152:155]// 000000008AD8: D3CD0098 0663216C
	v_subrev_f32_dpp v72, v150, v72 quad_perm:[0,0,0,0] row_mask:0xf bank_mask:0xf// 000000008AE0: 069090FA FF000096
	v_subrev_f32_dpp v73, v150, v73 quad_perm:[1,1,1,1] row_mask:0xf bank_mask:0xf// 000000008AE8: 069292FA FF005596
	v_subrev_f32_dpp v74, v150, v74 quad_perm:[2,2,2,2] row_mask:0xf bank_mask:0xf// 000000008AF0: 069494FA FF00AA96
	v_mfma_f32_16x16x16_f16 v[156:159], v[110:111], v[144:145], v[156:159]// 000000008AF8: D3CD009C 0673216E
	v_subrev_f32_dpp v75, v150, v75 quad_perm:[3,3,3,3] row_mask:0xf bank_mask:0xf// 000000008B00: 069696FA FF00FF96
	v_subrev_f32_dpp v76, v150, v76 quad_perm:[0,0,0,0] row_mask:0xf bank_mask:0xf// 000000008B08: 069898FA FF000096
	v_subrev_f32_dpp v77, v150, v77 quad_perm:[1,1,1,1] row_mask:0xf bank_mask:0xf// 000000008B10: 069A9AFA FF005596
	v_mfma_f32_16x16x16_f16 v[160:163], v[112:113], v[144:145], v[160:163]// 000000008B18: D3CD00A0 06832170
	v_mul_f32_e32 v72, v48, v72                                // 000000008B20: 0A909130
	v_mul_f32_e32 v73, v49, v73                                // 000000008B24: 0A929331
	v_mul_f32_e32 v74, v50, v74                                // 000000008B28: 0A949532
	v_mfma_f32_16x16x16_f16 v[164:167], v[114:115], v[144:145], v[164:167]// 000000008B2C: D3CD00A4 06932172
	v_mul_f32_e32 v75, v51, v75                                // 000000008B34: 0A969733
	v_mul_f32_e32 v76, v52, v76                                // 000000008B38: 0A989934
	v_mul_f32_e32 v77, v53, v77                                // 000000008B3C: 0A9A9B35
	v_mfma_f32_16x16x16_f16 v[168:171], v[116:117], v[144:145], v[168:171]// 000000008B40: D3CD00A8 06A32174
	v_cvt_pkrtz_f16_f32 v72, v72, v73                          // 000000008B48: D2960048 00029348
	v_cvt_pkrtz_f16_f32 v73, v74, v75                          // 000000008B50: D2960049 0002974A
	v_cvt_pkrtz_f16_f32 v74, v76, v77                          // 000000008B58: D296004A 00029B4C
	v_mfma_f32_16x16x16_f16 v[172:175], v[118:119], v[144:145], v[172:175]// 000000008B60: D3CD00AC 06B32176
	v_mov_b32_dpp v16, v72 quad_perm:[1,0,3,2] row_mask:0xf bank_mask:0xf// 000000008B68: 7E2002FA FF00B148
	v_perm_b32 v48, v16, v72, v15                              // 000000008B70: D1ED0030 043E9110
	v_mov_b32_dpp v16, v73 quad_perm:[1,0,3,2] row_mask:0xf bank_mask:0xf// 000000008B78: 7E2002FA FF00B149
	v_mfma_f32_16x16x16_f16 v[176:179], v[120:121], v[144:145], v[176:179]// 000000008B80: D3CD00B0 06C32178
	ds_write_b32 v18, v48 offset:17408                         // 000000008B88: D81A4400 00003012
	v_mfma_f32_16x16x16_f16 v[180:183], v[122:123], v[144:145], v[180:183]// 000000008B90: D3CD00B4 06D3217A
	v_perm_b32 v49, v16, v73, v15                              // 000000008B98: D1ED0031 043E9310
	v_mov_b32_dpp v16, v74 quad_perm:[1,0,3,2] row_mask:0xf bank_mask:0xf// 000000008BA0: 7E2002FA FF00B14A
	v_perm_b32 v50, v16, v74, v15                              // 000000008BA8: D1ED0032 043E9510
	v_mfma_f32_16x16x16_f16 v[184:187], v[108:109], v[146:147], v[184:187]// 000000008BB0: D3CD00B8 06E3256C
	ds_write_b32 v18, v49 offset:17952                         // 000000008BB8: D81A4620 00003112
	v_mfma_f32_16x16x16_f16 v[188:191], v[110:111], v[146:147], v[188:191]// 000000008BC0: D3CD00BC 06F3256E
	v_subrev_f32_dpp v78, v150, v78 quad_perm:[2,2,2,2] row_mask:0xf bank_mask:0xf// 000000008BC8: 069C9CFA FF00AA96
	v_subrev_f32_dpp v79, v150, v79 quad_perm:[3,3,3,3] row_mask:0xf bank_mask:0xf// 000000008BD0: 069E9EFA FF00FF96
	v_subrev_f32_dpp v80, v150, v80 quad_perm:[0,0,0,0] row_mask:0xf bank_mask:0xf// 000000008BD8: 06A0A0FA FF000096
	v_mfma_f32_16x16x16_f16 v[192:195], v[112:113], v[146:147], v[192:195]// 000000008BE0: D3CD00C0 07032570
	ds_write_b32 v18, v50 offset:19712                         // 000000008BE8: D81A4D00 00003212
	v_mfma_f32_16x16x16_f16 v[196:199], v[114:115], v[146:147], v[196:199]// 000000008BF0: D3CD00C4 07132572
	v_subrev_f32_dpp v81, v150, v81 quad_perm:[1,1,1,1] row_mask:0xf bank_mask:0xf// 000000008BF8: 06A2A2FA FF005596
	v_subrev_f32_dpp v82, v150, v82 quad_perm:[2,2,2,2] row_mask:0xf bank_mask:0xf// 000000008C00: 06A4A4FA FF00AA96
	v_subrev_f32_dpp v83, v150, v83 quad_perm:[3,3,3,3] row_mask:0xf bank_mask:0xf// 000000008C08: 06A6A6FA FF00FF96
	v_mfma_f32_16x16x16_f16 v[200:203], v[116:117], v[146:147], v[200:203]// 000000008C10: D3CD00C8 07232574
	v_mul_f32_e32 v78, v54, v78                                // 000000008C18: 0A9C9D36
	v_mul_f32_e32 v79, v55, v79                                // 000000008C1C: 0A9E9F37
	v_mul_f32_e32 v80, v56, v80                                // 000000008C20: 0AA0A138
	v_mfma_f32_16x16x16_f16 v[204:207], v[118:119], v[146:147], v[204:207]// 000000008C24: D3CD00CC 07332576
	v_mul_f32_e32 v81, v57, v81                                // 000000008C2C: 0AA2A339
	v_mul_f32_e32 v82, v58, v82                                // 000000008C30: 0AA4A53A
	v_mul_f32_e32 v83, v59, v83                                // 000000008C34: 0AA6A73B
	v_mfma_f32_16x16x16_f16 v[208:211], v[120:121], v[146:147], v[208:211]// 000000008C38: D3CD00D0 07432578
	v_cvt_pkrtz_f16_f32 v75, v78, v79                          // 000000008C40: D296004B 00029F4E
	v_cvt_pkrtz_f16_f32 v76, v80, v81                          // 000000008C48: D296004C 0002A350
	v_cvt_pkrtz_f16_f32 v77, v82, v83                          // 000000008C50: D296004D 0002A752
	v_mfma_f32_16x16x16_f16 v[212:215], v[122:123], v[146:147], v[212:215]// 000000008C58: D3CD00D4 0753257A
	v_mov_b32_dpp v16, v75 quad_perm:[1,0,3,2] row_mask:0xf bank_mask:0xf// 000000008C60: 7E2002FA FF00B14B
	v_perm_b32 v51, v16, v75, v15                              // 000000008C68: D1ED0033 043E9710
	v_mov_b32_dpp v16, v76 quad_perm:[1,0,3,2] row_mask:0xf bank_mask:0xf// 000000008C70: 7E2002FA FF00B14C
	v_mfma_f32_16x16x16_f16 v[216:219], v[108:109], v[148:149], v[216:219]// 000000008C78: D3CD00D8 0763296C
	ds_write_b32 v18, v51 offset:20256                         // 000000008C80: D81A4F20 00003312
	v_mfma_f32_16x16x16_f16 v[220:223], v[110:111], v[148:149], v[220:223]// 000000008C88: D3CD00DC 0773296E
	v_perm_b32 v52, v16, v76, v15                              // 000000008C90: D1ED0034 043E9910
	v_mov_b32_dpp v16, v77 quad_perm:[1,0,3,2] row_mask:0xf bank_mask:0xf// 000000008C98: 7E2002FA FF00B14D
	v_perm_b32 v53, v16, v77, v15                              // 000000008CA0: D1ED0035 043E9B10
	v_mfma_f32_16x16x16_f16 v[224:227], v[112:113], v[148:149], v[224:227]// 000000008CA8: D3CD00E0 07832970
	ds_write_b32 v18, v52 offset:22016                         // 000000008CB0: D81A5600 00003412
	ds_write_b32 v18, v53 offset:22560                         // 000000008CB8: D81A5820 00003512
	v_mfma_f32_16x16x16_f16 v[228:231], v[114:115], v[148:149], v[228:231]// 000000008CC0: D3CD00E4 07932972
	v_mfma_f32_16x16x16_f16 v[232:235], v[116:117], v[148:149], v[232:235]// 000000008CC8: D3CD00E8 07A32974
	ds_write_b32 v13, v84 offset:4352                          // 000000008CD0: D81A1100 0000540D
	ds_write_b32 v13, v85 offset:5408                          // 000000008CD8: D81A1520 0000550D
	v_mfma_f32_16x16x16_f16 v[236:239], v[118:119], v[148:149], v[236:239]// 000000008CE0: D3CD00EC 07B32976
	v_mfma_f32_16x16x16_f16 v[240:243], v[120:121], v[148:149], v[240:243]// 000000008CE8: D3CD00F0 07C32978
	ds_write_b32 v13, v86 offset:4480                          // 000000008CF0: D81A1180 0000560D
	ds_write_b32 v13, v87 offset:5536                          // 000000008CF8: D81A15A0 0000570D
	v_mfma_f32_16x16x16_f16 v[244:247], v[122:123], v[148:149], v[244:247]// 000000008D00: D3CD00F4 07D3297A
	s_nop 0                                                    // 000000008D08: BF800000
	s_nop 0                                                    // 000000008D0C: BF800000
	s_nop 0                                                    // 000000008D10: BF800000
	s_barrier                                                  // 000000008D14: BF8A0000
	v_mfma_f32_16x16x16_f16 a[160:163], a[144:145], v[72:73], a[160:163]// 000000008D18: D3CD80A0 0E829190
	ds_read_b32 v124, v21 offset:50688                         // 000000008D20: D86CC600 7C000015
	ds_read_b32 v150, v21 offset:50944                         // 000000008D28: D86CC700 96000015
	v_mfma_f32_16x16x16_f16 a[164:167], a[146:147], v[72:73], a[164:167]// 000000008D30: D3CD80A4 0E929192
	buffer_atomic_add_f32 v136, v7, s[32:35], 0 offen          // 000000008D38: E1341000 80088807
	v_mfma_f32_16x16x16_f16 a[168:171], a[148:149], v[72:73], a[168:171]// 000000008D40: D3CD80A8 0EA29194
	s_waitcnt lgkmcnt(6)                                       // 000000008D48: BF8CC67F
	s_barrier                                                  // 000000008D4C: BF8A0000
	v_mfma_f32_16x16x16_f16 a[172:175], a[150:151], v[72:73], a[172:175]// 000000008D50: D3CD80AC 0EB29196
	v_mfma_f32_16x16x16_f16 a[176:179], a[152:153], v[72:73], a[176:179]// 000000008D58: D3CD80B0 0EC29198
	ds_read_b128 v[48:51], v17 offset:17408                    // 000000008D60: D9FE4400 30000011
	v_mfma_f32_16x16x16_f16 a[180:183], a[154:155], v[72:73], a[180:183]// 000000008D68: D3CD80B4 0ED2919A
	v_mfma_f32_16x16x16_f16 a[184:187], a[156:157], v[72:73], a[184:187]// 000000008D70: D3CD80B8 0EE2919C
	ds_read_b128 v[52:55], v17 offset:18560                    // 000000008D78: D9FE4880 34000011
	v_mfma_f32_16x16x16_f16 a[188:191], a[158:159], v[72:73], a[188:191]// 000000008D80: D3CD80BC 0EF2919E
	buffer_atomic_add_f32 v137, v8, s[32:35], 0 offen          // 000000008D88: E1341000 80088908
	v_mfma_f32_16x16x16_f16 a[192:195], a[144:145], v[74:75], a[192:195]// 000000008D90: D3CD80C0 0F029590
	ds_read_b128 v[56:59], v17 offset:19712                    // 000000008D98: D9FE4D00 38000011
	v_mfma_f32_16x16x16_f16 a[196:199], a[146:147], v[74:75], a[196:199]// 000000008DA0: D3CD80C4 0F129592
	v_mfma_f32_16x16x16_f16 a[200:203], a[148:149], v[74:75], a[200:203]// 000000008DA8: D3CD80C8 0F229594
	ds_read_b128 v[60:63], v17 offset:20864                    // 000000008DB0: D9FE5180 3C000011
	v_mfma_f32_16x16x16_f16 a[204:207], a[150:151], v[74:75], a[204:207]// 000000008DB8: D3CD80CC 0F329596
	v_mfma_f32_16x16x16_f16 a[208:211], a[152:153], v[74:75], a[208:211]// 000000008DC0: D3CD80D0 0F429598
	ds_read_b128 v[64:67], v17 offset:22016                    // 000000008DC8: D9FE5600 40000011
	v_mfma_f32_16x16x16_f16 a[212:215], a[154:155], v[74:75], a[212:215]// 000000008DD0: D3CD80D4 0F52959A
	buffer_atomic_add_f32 v138, v7, s[32:35], 0 offen offset:128// 000000008DD8: E1341080 80088A07
	v_mfma_f32_16x16x16_f16 a[216:219], a[156:157], v[74:75], a[216:219]// 000000008DE0: D3CD80D8 0F62959C
	ds_read_b128 v[68:71], v17 offset:23168                    // 000000008DE8: D9FE5A80 44000011
	v_mfma_f32_16x16x16_f16 a[220:223], a[158:159], v[74:75], a[220:223]// 000000008DF0: D3CD80DC 0F72959E
	v_mfma_f32_16x16x16_f16 a[224:227], a[144:145], v[76:77], a[224:227]// 000000008DF8: D3CD80E0 0F829990
	ds_write_b32 v13, v88 offset:13056                         // 000000008E00: D81A3300 0000580D
	v_mfma_f32_16x16x16_f16 a[228:231], a[146:147], v[76:77], a[228:231]// 000000008E08: D3CD80E4 0F929992
	v_mfma_f32_16x16x16_f16 a[232:235], a[148:149], v[76:77], a[232:235]// 000000008E10: D3CD80E8 0FA29994
	ds_write_b32 v13, v89 offset:14112                         // 000000008E18: D81A3720 0000590D
	v_mfma_f32_16x16x16_f16 a[236:239], a[150:151], v[76:77], a[236:239]// 000000008E20: D3CD80EC 0FB29996
	buffer_atomic_add_f32 v139, v8, s[32:35], 0 offen offset:128// 000000008E28: E1341080 80088B08
	v_mfma_f32_16x16x16_f16 a[240:243], a[152:153], v[76:77], a[240:243]// 000000008E30: D3CD80F0 0FC29998
	ds_write_b32 v13, v90 offset:13184                         // 000000008E38: D81A3380 00005A0D
	v_mfma_f32_16x16x16_f16 a[244:247], a[154:155], v[76:77], a[244:247]// 000000008E40: D3CD80F4 0FD2999A
	v_mfma_f32_16x16x16_f16 a[248:251], a[156:157], v[76:77], a[248:251]// 000000008E48: D3CD80F8 0FE2999C
	ds_write_b32 v13, v91 offset:14240                         // 000000008E50: D81A37A0 00005B0D
	v_mfma_f32_16x16x16_f16 a[252:255], a[158:159], v[76:77], a[252:255]// 000000008E58: D3CD80FC 0FF2999E
	s_waitcnt vmcnt(8) lgkmcnt(4)                              // 000000008E60: BF8C0478
	s_barrier                                                  // 000000008E64: BF8A0000
	v_mfma_f32_16x16x16_f16 v[128:131], v[48:49], a[48:49], 0  // 000000008E68: D3CD0080 12026130
	ds_read_b128 a[144:147], v10                               // 000000008E70: DBFE0000 9000000A
	buffer_load_dword v32, v1, s[8:11], 0 idxen                // 000000008E78: E0502000 80022001
	v_mfma_f32_16x16x16_f16 v[128:131], v[50:51], a[52:53], v[128:131]// 000000008E80: D3CD0080 16026932
	v_mul_f32_e32 v124, s48, v124                              // 000000008E88: 0AF8F830
	s_nop 0                                                    // 000000008E8C: BF800000
	v_mfma_f32_16x16x16_f16 v[128:131], v[52:53], a[56:57], v[128:131]// 000000008E90: D3CD0080 16027134
	ds_read_b128 a[148:151], v10 offset:512                    // 000000008E98: DBFE0200 9400000A
	buffer_load_dword v33, v2, s[8:11], 0 idxen                // 000000008EA0: E0502000 80022102
	v_mfma_f32_16x16x16_f16 v[128:131], v[54:55], a[60:61], v[128:131]// 000000008EA8: D3CD0080 16027936
	v_mfma_f32_16x16x16_f16 v[128:131], v[56:57], a[64:65], v[128:131]// 000000008EB0: D3CD0080 16028138
	ds_read_b128 a[152:155], v10 offset:2176                   // 000000008EB8: DBFE0880 9800000A
	buffer_load_dword v34, v3, s[8:11], 0 idxen                // 000000008EC0: E0502000 80022203
	v_mfma_f32_16x16x16_f16 v[128:131], v[58:59], a[68:69], v[128:131]// 000000008EC8: D3CD0080 1602893A
	v_perm_b32 v84, v37, v36, s63                              // 000000008ED0: D1ED0054 00FE4925
	v_perm_b32 v85, v37, v36, s64                              // 000000008ED8: D1ED0055 01024925
	v_mfma_f32_16x16x16_f16 v[128:131], v[60:61], a[72:73], v[128:131]// 000000008EE0: D3CD0080 1602913C
	ds_read_b128 a[156:159], v10 offset:2688                   // 000000008EE8: DBFE0A80 9C00000A
	buffer_load_dword v35, v4, s[8:11], 0 idxen                // 000000008EF0: E0502000 80022304
	v_mfma_f32_16x16x16_f16 v[128:131], v[62:63], a[76:77], v[128:131]// 000000008EF8: D3CD0080 1602993E
	v_perm_b32 v86, v39, v38, s63                              // 000000008F00: D1ED0056 00FE4D27
	v_perm_b32 v87, v39, v38, s64                              // 000000008F08: D1ED0057 01024D27
	v_mfma_f32_16x16x16_f16 v[128:131], v[64:65], a[80:81], v[128:131]// 000000008F10: D3CD0080 1602A140
	ds_read_b128 v[92:95], v10 offset:8704                     // 000000008F18: D9FE2200 5C00000A
	buffer_load_dword v40, v248, s[20:23], 0 idxen             // 000000008F20: E0502000 800528F8
	v_mfma_f32_16x16x16_f16 v[128:131], v[66:67], a[84:85], v[128:131]// 000000008F28: D3CD0080 1602A942
	v_perm_b32 v88, v45, v44, s63                              // 000000008F30: D1ED0058 00FE592D
	v_perm_b32 v89, v45, v44, s64                              // 000000008F38: D1ED0059 0102592D
	v_mfma_f32_16x16x16_f16 v[128:131], v[68:69], a[88:89], v[128:131]// 000000008F40: D3CD0080 1602B144
	ds_read_b128 v[96:99], v10 offset:9216                     // 000000008F48: D9FE2400 6000000A
	buffer_load_dword v41, v249, s[20:23], 0 idxen             // 000000008F50: E0502000 800529F9
	v_mfma_f32_16x16x16_f16 v[128:131], v[70:71], a[92:93], v[128:131]// 000000008F58: D3CD0080 1602B946
	v_perm_b32 v90, v47, v46, s63                              // 000000008F60: D1ED005A 00FE5D2F
	v_perm_b32 v91, v47, v46, s64                              // 000000008F68: D1ED005B 01025D2F
	v_mfma_f32_16x16x16_f16 v[132:135], v[48:49], a[50:51], 0  // 000000008F70: D3CD0084 12026530
	ds_read_b128 v[100:103], v10 offset:10880                  // 000000008F78: D9FE2A80 6400000A
	buffer_load_dword v42, v250, s[20:23], 0 idxen             // 000000008F80: E0502000 80052AFA
	v_mfma_f32_16x16x16_f16 v[132:135], v[50:51], a[54:55], v[132:135]// 000000008F88: D3CD0084 16126D32
	v_mov_b32_dpp v127, v124 quad_perm:[3,3,3,3] row_mask:0xf bank_mask:0xf// 000000008F90: 7EFE02FA FF00FF7C
	v_mov_b32_dpp v126, v124 quad_perm:[2,2,2,2] row_mask:0xf bank_mask:0xf// 000000008F98: 7EFC02FA FF00AA7C
	v_mfma_f32_16x16x16_f16 v[132:135], v[52:53], a[58:59], v[132:135]// 000000008FA0: D3CD0084 16127534
	ds_read_b128 v[104:107], v10 offset:11392                  // 000000008FA8: D9FE2C80 6800000A
	buffer_load_dword v43, v251, s[20:23], 0 idxen             // 000000008FB0: E0502000 80052BFB
	v_mfma_f32_16x16x16_f16 v[132:135], v[54:55], a[62:63], v[132:135]// 000000008FB8: D3CD0084 16127D36
	v_mov_b32_dpp v125, v124 quad_perm:[1,1,1,1] row_mask:0xf bank_mask:0xf// 000000008FC0: 7EFA02FA FF00557C
	v_mov_b32_dpp v124, v124 quad_perm:[0,0,0,0] row_mask:0xf bank_mask:0xf// 000000008FC8: 7EF802FA FF00007C
	s_add_u32 s60, 64, s59                                     // 000000008FD0: 803C3BC0
	v_mfma_f32_16x16x16_f16 v[132:135], v[56:57], a[66:67], v[132:135]// 000000008FD4: D3CD0084 16128538
	buffer_load_dword v9, s[24:27], 0 idxen lds                // 000000008FDC: E0512000 80060009
	v_mfma_f32_16x16x16_f16 v[132:135], v[58:59], a[70:71], v[132:135]// 000000008FE4: D3CD0084 16128D3A
	s_cmp_lt_u32 s60, s58                                      // 000000008FEC: BF0A3A3C
	s_cselect_b32 s68, s68, 0                                  // 000000008FF0: 85448044
	s_cselect_b32 s100, s100, 0                                // 000000008FF4: 85648064
	s_cselect_b32 s69, s69, 0                                  // 000000008FF8: 85458045
	v_mfma_f32_16x16x16_f16 v[132:135], v[60:61], a[74:75], v[132:135]// 000000008FFC: D3CD0084 1612953C
	v_add_u32_e32 v1, s68, v1                                  // 000000009004: 68020244
	v_add_u32_e32 v2, s68, v2                                  // 000000009008: 68040444
	v_add_u32_e32 v3, s68, v3                                  // 00000000900C: 68060644
	v_add_u32_e32 v4, s68, v4                                  // 000000009010: 68080844
	v_mfma_f32_16x16x16_f16 v[132:135], v[62:63], a[78:79], v[132:135]// 000000009014: D3CD0084 16129D3E
	v_add_u32_e32 v248, s100, v248                             // 00000000901C: 69F1F064
	v_add_u32_e32 v249, s100, v249                             // 000000009020: 69F3F264
	v_add_u32_e32 v250, s100, v250                             // 000000009024: 69F5F464
	v_add_u32_e32 v251, s100, v251                             // 000000009028: 69F7F664
	v_mfma_f32_16x16x16_f16 v[132:135], v[64:65], a[82:83], v[132:135]// 00000000902C: D3CD0084 1612A540
	s_mov_b32 m0, s79                                          // 000000009034: BEFC004F
	v_add_u32_e32 v9, s69, v9                                  // 000000009038: 68121245
	v_mfma_f32_16x16x16_f16 v[132:135], v[66:67], a[86:87], v[132:135]// 00000000903C: D3CD0084 1612AD42
	s_cmp_ge_u32 s59, s73                                      // 000000009044: BF09493B
	s_cselect_b32 s66, s67, s66                                // 000000009048: 85424243
	v_mfma_f32_16x16x16_f16 v[132:135], v[68:69], a[90:91], v[132:135]// 00000000904C: D3CD0084 1612B544
	s_addk_i32 s59, 0x10                                       // 000000009054: B73B0010
	s_nop 0                                                    // 000000009058: BF800000
	s_cmp_lt_i32 s59, s58                                      // 00000000905C: BF043A3B
	v_mfma_f32_16x16x16_f16 v[132:135], v[70:71], a[94:95], v[132:135]// 000000009060: D3CD0084 1612BD46
	s_cbranch_scc0 label_0E94                                  // 000000009068: BF84F9EF
	s_branch label_0E9B                                        // 00000000906C: BF82F9F5

0000000000009070 <label_14B0>:
	buffer_atomic_add_f32 v140, v7, s[32:35], 0 offen offset:256// 000000009070: E1341100 80088C07
	buffer_atomic_add_f32 v141, v8, s[32:35], 0 offen offset:256// 000000009078: E1341100 80088D08
	buffer_atomic_add_f32 v142, v7, s[32:35], 0 offen offset:384// 000000009080: E1341180 80088E07
	buffer_atomic_add_f32 v143, v8, s[32:35], 0 offen offset:384// 000000009088: E1341180 80088F08
	v_add_u32_e32 v7, s66, v7                                  // 000000009090: 680E0E42
	v_add_u32_e32 v8, s66, v8                                  // 000000009094: 68101042
	v_lshrrev_b32_e32 v28, 5, v0                               // 000000009098: 20380085
	v_mul_i32_i24_e32 v25, 0x42, v28                           // 00000000909C: 0C3238FF 00000042
	v_and_b32_e32 v28, 31, v0                                  // 0000000090A4: 2638009F
	v_mul_i32_i24_e32 v29, 2, v28                              // 0000000090A8: 0C3A3882
	v_add_u32_e32 v25, v29, v25                                // 0000000090AC: 6832331D
	s_mul_i32 s60, s46, 0x420                                  // 0000000090B0: 923CFF2E 00000420
	v_add_u32_e32 v25, s60, v25                                // 0000000090B8: 6832323C
	v_lshlrev_b32_e32 v25, 2, v25                              // 0000000090BC: 24323282
	v_mul_f32_e32 v128, s47, v128                              // 0000000090C0: 0B01002F
	v_mul_f32_e32 v129, s47, v129                              // 0000000090C4: 0B03022F
	v_mul_f32_e32 v130, s47, v130                              // 0000000090C8: 0B05042F
	v_mul_f32_e32 v131, s47, v131                              // 0000000090CC: 0B07062F
	v_mul_f32_e32 v132, s47, v132                              // 0000000090D0: 0B09082F
	v_mul_f32_e32 v133, s47, v133                              // 0000000090D4: 0B0B0A2F
	v_mul_f32_e32 v134, s47, v134                              // 0000000090D8: 0B0D0C2F
	v_mul_f32_e32 v135, s47, v135                              // 0000000090DC: 0B0F0E2F
	ds_write_b64 v20, v[128:129] offset:24320                  // 0000000090E0: D89A5F00 00008014
	ds_write_b64 v20, v[130:131] offset:24832                  // 0000000090E8: D89A6100 00008214
	ds_write_b64 v20, v[132:133] offset:25344                  // 0000000090F0: D89A6300 00008414
	ds_write_b64 v20, v[134:135] offset:25856                  // 0000000090F8: D89A6500 00008614
	s_waitcnt lgkmcnt(0)                                       // 000000009100: BF8CC07F
	s_barrier                                                  // 000000009104: BF8A0000
	ds_read_b64 v[136:137], v19 offset:24320                   // 000000009108: D8EC5F00 88000013
	ds_read_b64 v[138:139], v19 offset:26368                   // 000000009110: D8EC6700 8A000013
	ds_read_b64 v[140:141], v19 offset:28416                   // 000000009118: D8EC6F00 8C000013
	ds_read_b64 v[142:143], v19 offset:30464                   // 000000009120: D8EC7700 8E000013
	s_waitcnt lgkmcnt(0)                                       // 000000009128: BF8CC07F
	s_barrier                                                  // 00000000912C: BF8A0000
	buffer_atomic_add_f32 v136, v7, s[32:35], 0 offen          // 000000009130: E1341000 80088807
	buffer_atomic_add_f32 v137, v8, s[32:35], 0 offen          // 000000009138: E1341000 80088908
	buffer_atomic_add_f32 v138, v7, s[32:35], 0 offen offset:128// 000000009140: E1341080 80088A07
	buffer_atomic_add_f32 v139, v8, s[32:35], 0 offen offset:128// 000000009148: E1341080 80088B08
	buffer_atomic_add_f32 v140, v7, s[32:35], 0 offen offset:256// 000000009150: E1341100 80088C07
	buffer_atomic_add_f32 v141, v8, s[32:35], 0 offen offset:256// 000000009158: E1341100 80088D08
	buffer_atomic_add_f32 v142, v7, s[32:35], 0 offen offset:384// 000000009160: E1341180 80088E07
	buffer_atomic_add_f32 v143, v8, s[32:35], 0 offen offset:384// 000000009168: E1341180 80088F08
	v_lshrrev_b32_e32 v28, 4, v0                               // 000000009170: 20380084
	v_mul_i32_i24_e32 v24, 2, v28                              // 000000009174: 0C303882
	v_and_b32_e32 v28, 15, v0                                  // 000000009178: 2638008F
	v_mul_i32_i24_e32 v29, 0x42, v28                           // 00000000917C: 0C3A38FF 00000042
	v_add_u32_e32 v24, v29, v24                                // 000000009184: 6830311D
	s_mul_i32 s60, s46, 0x420                                  // 000000009188: 923CFF2E 00000420
	v_add_u32_e32 v24, s60, v24                                // 000000009190: 6830303C
	v_lshlrev_b32_e32 v24, 2, v24                              // 000000009194: 24303082
	v_accvgpr_read_b32 v28, a160                               // 000000009198: D3D8401C 180001A0
	v_accvgpr_read_b32 v29, a161                               // 0000000091A0: D3D8401D 180001A1
	v_mul_f32_e32 v28, s47, v28                                // 0000000091A8: 0A38382F
	v_mul_f32_e32 v29, s47, v29                                // 0000000091AC: 0A3A3A2F
	v_cvt_pkrtz_f16_f32 v48, v28, v29                          // 0000000091B0: D2960030 00023B1C
	v_accvgpr_read_b32 v28, a162                               // 0000000091B8: D3D8401C 180001A2
	v_accvgpr_read_b32 v29, a163                               // 0000000091C0: D3D8401D 180001A3
	v_mul_f32_e32 v28, s47, v28                                // 0000000091C8: 0A38382F
	v_mul_f32_e32 v29, s47, v29                                // 0000000091CC: 0A3A3A2F
	v_cvt_pkrtz_f16_f32 v49, v28, v29                          // 0000000091D0: D2960031 00023B1C
	v_accvgpr_read_b32 v28, a164                               // 0000000091D8: D3D8401C 180001A4
	v_accvgpr_read_b32 v29, a165                               // 0000000091E0: D3D8401D 180001A5
	v_mul_f32_e32 v28, s47, v28                                // 0000000091E8: 0A38382F
	v_mul_f32_e32 v29, s47, v29                                // 0000000091EC: 0A3A3A2F
	v_cvt_pkrtz_f16_f32 v50, v28, v29                          // 0000000091F0: D2960032 00023B1C
	v_accvgpr_read_b32 v28, a166                               // 0000000091F8: D3D8401C 180001A6
	v_accvgpr_read_b32 v29, a167                               // 000000009200: D3D8401D 180001A7
	v_mul_f32_e32 v28, s47, v28                                // 000000009208: 0A38382F
	v_mul_f32_e32 v29, s47, v29                                // 00000000920C: 0A3A3A2F
	v_cvt_pkrtz_f16_f32 v51, v28, v29                          // 000000009210: D2960033 00023B1C
	v_accvgpr_read_b32 v28, a168                               // 000000009218: D3D8401C 180001A8
	v_accvgpr_read_b32 v29, a169                               // 000000009220: D3D8401D 180001A9
	v_mul_f32_e32 v28, s47, v28                                // 000000009228: 0A38382F
	v_mul_f32_e32 v29, s47, v29                                // 00000000922C: 0A3A3A2F
	v_cvt_pkrtz_f16_f32 v52, v28, v29                          // 000000009230: D2960034 00023B1C
	v_accvgpr_read_b32 v28, a170                               // 000000009238: D3D8401C 180001AA
	v_accvgpr_read_b32 v29, a171                               // 000000009240: D3D8401D 180001AB
	v_mul_f32_e32 v28, s47, v28                                // 000000009248: 0A38382F
	v_mul_f32_e32 v29, s47, v29                                // 00000000924C: 0A3A3A2F
	v_cvt_pkrtz_f16_f32 v53, v28, v29                          // 000000009250: D2960035 00023B1C
	v_accvgpr_read_b32 v28, a172                               // 000000009258: D3D8401C 180001AC
	v_accvgpr_read_b32 v29, a173                               // 000000009260: D3D8401D 180001AD
	v_mul_f32_e32 v28, s47, v28                                // 000000009268: 0A38382F
	v_mul_f32_e32 v29, s47, v29                                // 00000000926C: 0A3A3A2F
	v_cvt_pkrtz_f16_f32 v54, v28, v29                          // 000000009270: D2960036 00023B1C
	v_accvgpr_read_b32 v28, a174                               // 000000009278: D3D8401C 180001AE
	v_accvgpr_read_b32 v29, a175                               // 000000009280: D3D8401D 180001AF
	v_mul_f32_e32 v28, s47, v28                                // 000000009288: 0A38382F
	v_mul_f32_e32 v29, s47, v29                                // 00000000928C: 0A3A3A2F
	v_cvt_pkrtz_f16_f32 v55, v28, v29                          // 000000009290: D2960037 00023B1C
	v_accvgpr_read_b32 v28, a176                               // 000000009298: D3D8401C 180001B0
	v_accvgpr_read_b32 v29, a177                               // 0000000092A0: D3D8401D 180001B1
	v_mul_f32_e32 v28, s47, v28                                // 0000000092A8: 0A38382F
	v_mul_f32_e32 v29, s47, v29                                // 0000000092AC: 0A3A3A2F
	v_cvt_pkrtz_f16_f32 v56, v28, v29                          // 0000000092B0: D2960038 00023B1C
	v_accvgpr_read_b32 v28, a178                               // 0000000092B8: D3D8401C 180001B2
	v_accvgpr_read_b32 v29, a179                               // 0000000092C0: D3D8401D 180001B3
	v_mul_f32_e32 v28, s47, v28                                // 0000000092C8: 0A38382F
	v_mul_f32_e32 v29, s47, v29                                // 0000000092CC: 0A3A3A2F
	v_cvt_pkrtz_f16_f32 v57, v28, v29                          // 0000000092D0: D2960039 00023B1C
	v_accvgpr_read_b32 v28, a180                               // 0000000092D8: D3D8401C 180001B4
	v_accvgpr_read_b32 v29, a181                               // 0000000092E0: D3D8401D 180001B5
	v_mul_f32_e32 v28, s47, v28                                // 0000000092E8: 0A38382F
	v_mul_f32_e32 v29, s47, v29                                // 0000000092EC: 0A3A3A2F
	v_cvt_pkrtz_f16_f32 v58, v28, v29                          // 0000000092F0: D296003A 00023B1C
	v_accvgpr_read_b32 v28, a182                               // 0000000092F8: D3D8401C 180001B6
	v_accvgpr_read_b32 v29, a183                               // 000000009300: D3D8401D 180001B7
	v_mul_f32_e32 v28, s47, v28                                // 000000009308: 0A38382F
	v_mul_f32_e32 v29, s47, v29                                // 00000000930C: 0A3A3A2F
	v_cvt_pkrtz_f16_f32 v59, v28, v29                          // 000000009310: D296003B 00023B1C
	v_accvgpr_read_b32 v28, a184                               // 000000009318: D3D8401C 180001B8
	v_accvgpr_read_b32 v29, a185                               // 000000009320: D3D8401D 180001B9
	v_mul_f32_e32 v28, s47, v28                                // 000000009328: 0A38382F
	v_mul_f32_e32 v29, s47, v29                                // 00000000932C: 0A3A3A2F
	v_cvt_pkrtz_f16_f32 v60, v28, v29                          // 000000009330: D296003C 00023B1C
	v_accvgpr_read_b32 v28, a186                               // 000000009338: D3D8401C 180001BA
	v_accvgpr_read_b32 v29, a187                               // 000000009340: D3D8401D 180001BB
	v_mul_f32_e32 v28, s47, v28                                // 000000009348: 0A38382F
	v_mul_f32_e32 v29, s47, v29                                // 00000000934C: 0A3A3A2F
	v_cvt_pkrtz_f16_f32 v61, v28, v29                          // 000000009350: D296003D 00023B1C
	v_accvgpr_read_b32 v28, a188                               // 000000009358: D3D8401C 180001BC
	v_accvgpr_read_b32 v29, a189                               // 000000009360: D3D8401D 180001BD
	v_mul_f32_e32 v28, s47, v28                                // 000000009368: 0A38382F
	v_mul_f32_e32 v29, s47, v29                                // 00000000936C: 0A3A3A2F
	v_cvt_pkrtz_f16_f32 v62, v28, v29                          // 000000009370: D296003E 00023B1C
	v_accvgpr_read_b32 v28, a190                               // 000000009378: D3D8401C 180001BE
	v_accvgpr_read_b32 v29, a191                               // 000000009380: D3D8401D 180001BF
	v_mul_f32_e32 v28, s47, v28                                // 000000009388: 0A38382F
	v_mul_f32_e32 v29, s47, v29                                // 00000000938C: 0A3A3A2F
	v_cvt_pkrtz_f16_f32 v63, v28, v29                          // 000000009390: D296003F 00023B1C
	ds_write_b64 v25, v[48:49]                                 // 000000009398: D89A0000 00003019
	ds_write_b64 v25, v[50:51] offset:528                      // 0000000093A0: D89A0210 00003219
	ds_write_b64 v25, v[52:53] offset:1056                     // 0000000093A8: D89A0420 00003419
	ds_write_b64 v25, v[54:55] offset:1584                     // 0000000093B0: D89A0630 00003619
	ds_write_b64 v25, v[56:57] offset:2112                     // 0000000093B8: D89A0840 00003819
	ds_write_b64 v25, v[58:59] offset:2640                     // 0000000093C0: D89A0A50 00003A19
	ds_write_b64 v25, v[60:61] offset:3168                     // 0000000093C8: D89A0C60 00003C19
	ds_write_b64 v25, v[62:63] offset:3696                     // 0000000093D0: D89A0E70 00003E19
	s_waitcnt lgkmcnt(0)                                       // 0000000093D8: BF8CC07F
	s_barrier                                                  // 0000000093DC: BF8A0000
	ds_read_b64 v[48:49], v24                                  // 0000000093E0: D8EC0000 30000018
	ds_read_b64 v[50:51], v24 offset:128                       // 0000000093E8: D8EC0080 32000018
	ds_read_b64 v[52:53], v24 offset:32                        // 0000000093F0: D8EC0020 34000018
	ds_read_b64 v[54:55], v24 offset:160                       // 0000000093F8: D8EC00A0 36000018
	ds_read_b64 v[56:57], v24 offset:64                        // 000000009400: D8EC0040 38000018
	ds_read_b64 v[58:59], v24 offset:192                       // 000000009408: D8EC00C0 3A000018
	ds_read_b64 v[60:61], v24 offset:96                        // 000000009410: D8EC0060 3C000018
	ds_read_b64 v[62:63], v24 offset:224                       // 000000009418: D8EC00E0 3E000018
	s_waitcnt lgkmcnt(0)                                       // 000000009420: BF8CC07F
	s_mov_b32 s70, s52                                         // 000000009424: BEC60034
	buffer_store_dwordx4 v[48:51], v5, s[36:39], 0 idxen       // 000000009428: E07C2000 80093005
	v_add_u32_e32 v5, s70, v5                                  // 000000009430: 680A0A46
	buffer_store_dwordx4 v[52:55], v5, s[36:39], 0 idxen       // 000000009434: E07C2000 80093405
	v_add_u32_e32 v5, s70, v5                                  // 00000000943C: 680A0A46
	buffer_store_dwordx4 v[56:59], v5, s[36:39], 0 idxen       // 000000009440: E07C2000 80093805
	v_add_u32_e32 v5, s70, v5                                  // 000000009448: 680A0A46
	buffer_store_dwordx4 v[60:63], v5, s[36:39], 0 idxen       // 00000000944C: E07C2000 80093C05
	v_add_u32_e32 v5, s70, v5                                  // 000000009454: 680A0A46
	s_mul_i32 s60, 12, s70                                     // 000000009458: 923C468C
	v_add_u32_e32 v5, s60, v5                                  // 00000000945C: 680A0A3C
	s_barrier                                                  // 000000009460: BF8A0000
	s_cmp_ge_i32 1, s72                                        // 000000009464: BF034881
	s_cbranch_scc1 label_1719                                  // 000000009468: BF85016A
	v_accvgpr_read_b32 v28, a192                               // 00000000946C: D3D8401C 180001C0
	v_accvgpr_read_b32 v29, a193                               // 000000009474: D3D8401D 180001C1
	v_mul_f32_e32 v28, s47, v28                                // 00000000947C: 0A38382F
	v_mul_f32_e32 v29, s47, v29                                // 000000009480: 0A3A3A2F
	v_cvt_pkrtz_f16_f32 v64, v28, v29                          // 000000009484: D2960040 00023B1C
	v_accvgpr_read_b32 v28, a194                               // 00000000948C: D3D8401C 180001C2
	v_accvgpr_read_b32 v29, a195                               // 000000009494: D3D8401D 180001C3
	v_mul_f32_e32 v28, s47, v28                                // 00000000949C: 0A38382F
	v_mul_f32_e32 v29, s47, v29                                // 0000000094A0: 0A3A3A2F
	v_cvt_pkrtz_f16_f32 v65, v28, v29                          // 0000000094A4: D2960041 00023B1C
	v_accvgpr_read_b32 v28, a196                               // 0000000094AC: D3D8401C 180001C4
	v_accvgpr_read_b32 v29, a197                               // 0000000094B4: D3D8401D 180001C5
	v_mul_f32_e32 v28, s47, v28                                // 0000000094BC: 0A38382F
	v_mul_f32_e32 v29, s47, v29                                // 0000000094C0: 0A3A3A2F
	v_cvt_pkrtz_f16_f32 v66, v28, v29                          // 0000000094C4: D2960042 00023B1C
	v_accvgpr_read_b32 v28, a198                               // 0000000094CC: D3D8401C 180001C6
	v_accvgpr_read_b32 v29, a199                               // 0000000094D4: D3D8401D 180001C7
	v_mul_f32_e32 v28, s47, v28                                // 0000000094DC: 0A38382F
	v_mul_f32_e32 v29, s47, v29                                // 0000000094E0: 0A3A3A2F
	v_cvt_pkrtz_f16_f32 v67, v28, v29                          // 0000000094E4: D2960043 00023B1C
	v_accvgpr_read_b32 v28, a200                               // 0000000094EC: D3D8401C 180001C8
	v_accvgpr_read_b32 v29, a201                               // 0000000094F4: D3D8401D 180001C9
	v_mul_f32_e32 v28, s47, v28                                // 0000000094FC: 0A38382F
	v_mul_f32_e32 v29, s47, v29                                // 000000009500: 0A3A3A2F
	v_cvt_pkrtz_f16_f32 v68, v28, v29                          // 000000009504: D2960044 00023B1C
	v_accvgpr_read_b32 v28, a202                               // 00000000950C: D3D8401C 180001CA
	v_accvgpr_read_b32 v29, a203                               // 000000009514: D3D8401D 180001CB
	v_mul_f32_e32 v28, s47, v28                                // 00000000951C: 0A38382F
	v_mul_f32_e32 v29, s47, v29                                // 000000009520: 0A3A3A2F
	v_cvt_pkrtz_f16_f32 v69, v28, v29                          // 000000009524: D2960045 00023B1C
	v_accvgpr_read_b32 v28, a204                               // 00000000952C: D3D8401C 180001CC
	v_accvgpr_read_b32 v29, a205                               // 000000009534: D3D8401D 180001CD
	v_mul_f32_e32 v28, s47, v28                                // 00000000953C: 0A38382F
	v_mul_f32_e32 v29, s47, v29                                // 000000009540: 0A3A3A2F
	v_cvt_pkrtz_f16_f32 v70, v28, v29                          // 000000009544: D2960046 00023B1C
	v_accvgpr_read_b32 v28, a206                               // 00000000954C: D3D8401C 180001CE
	v_accvgpr_read_b32 v29, a207                               // 000000009554: D3D8401D 180001CF
	v_mul_f32_e32 v28, s47, v28                                // 00000000955C: 0A38382F
	v_mul_f32_e32 v29, s47, v29                                // 000000009560: 0A3A3A2F
	v_cvt_pkrtz_f16_f32 v71, v28, v29                          // 000000009564: D2960047 00023B1C
	v_accvgpr_read_b32 v28, a208                               // 00000000956C: D3D8401C 180001D0
	v_accvgpr_read_b32 v29, a209                               // 000000009574: D3D8401D 180001D1
	v_mul_f32_e32 v28, s47, v28                                // 00000000957C: 0A38382F
	v_mul_f32_e32 v29, s47, v29                                // 000000009580: 0A3A3A2F
	v_cvt_pkrtz_f16_f32 v72, v28, v29                          // 000000009584: D2960048 00023B1C
	v_accvgpr_read_b32 v28, a210                               // 00000000958C: D3D8401C 180001D2
	v_accvgpr_read_b32 v29, a211                               // 000000009594: D3D8401D 180001D3
	v_mul_f32_e32 v28, s47, v28                                // 00000000959C: 0A38382F
	v_mul_f32_e32 v29, s47, v29                                // 0000000095A0: 0A3A3A2F
	v_cvt_pkrtz_f16_f32 v73, v28, v29                          // 0000000095A4: D2960049 00023B1C
	v_accvgpr_read_b32 v28, a212                               // 0000000095AC: D3D8401C 180001D4
	v_accvgpr_read_b32 v29, a213                               // 0000000095B4: D3D8401D 180001D5
	v_mul_f32_e32 v28, s47, v28                                // 0000000095BC: 0A38382F
	v_mul_f32_e32 v29, s47, v29                                // 0000000095C0: 0A3A3A2F
	v_cvt_pkrtz_f16_f32 v74, v28, v29                          // 0000000095C4: D296004A 00023B1C
	v_accvgpr_read_b32 v28, a214                               // 0000000095CC: D3D8401C 180001D6
	v_accvgpr_read_b32 v29, a215                               // 0000000095D4: D3D8401D 180001D7
	v_mul_f32_e32 v28, s47, v28                                // 0000000095DC: 0A38382F
	v_mul_f32_e32 v29, s47, v29                                // 0000000095E0: 0A3A3A2F
	v_cvt_pkrtz_f16_f32 v75, v28, v29                          // 0000000095E4: D296004B 00023B1C
	v_accvgpr_read_b32 v28, a216                               // 0000000095EC: D3D8401C 180001D8
	v_accvgpr_read_b32 v29, a217                               // 0000000095F4: D3D8401D 180001D9
	v_mul_f32_e32 v28, s47, v28                                // 0000000095FC: 0A38382F
	v_mul_f32_e32 v29, s47, v29                                // 000000009600: 0A3A3A2F
	v_cvt_pkrtz_f16_f32 v76, v28, v29                          // 000000009604: D296004C 00023B1C
	v_accvgpr_read_b32 v28, a218                               // 00000000960C: D3D8401C 180001DA
	v_accvgpr_read_b32 v29, a219                               // 000000009614: D3D8401D 180001DB
	v_mul_f32_e32 v28, s47, v28                                // 00000000961C: 0A38382F
	v_mul_f32_e32 v29, s47, v29                                // 000000009620: 0A3A3A2F
	v_cvt_pkrtz_f16_f32 v77, v28, v29                          // 000000009624: D296004D 00023B1C
	v_accvgpr_read_b32 v28, a220                               // 00000000962C: D3D8401C 180001DC
	v_accvgpr_read_b32 v29, a221                               // 000000009634: D3D8401D 180001DD
	v_mul_f32_e32 v28, s47, v28                                // 00000000963C: 0A38382F
	v_mul_f32_e32 v29, s47, v29                                // 000000009640: 0A3A3A2F
	v_cvt_pkrtz_f16_f32 v78, v28, v29                          // 000000009644: D296004E 00023B1C
	v_accvgpr_read_b32 v28, a222                               // 00000000964C: D3D8401C 180001DE
	v_accvgpr_read_b32 v29, a223                               // 000000009654: D3D8401D 180001DF
	v_mul_f32_e32 v28, s47, v28                                // 00000000965C: 0A38382F
	v_mul_f32_e32 v29, s47, v29                                // 000000009660: 0A3A3A2F
	v_cvt_pkrtz_f16_f32 v79, v28, v29                          // 000000009664: D296004F 00023B1C
	ds_write_b64 v25, v[64:65] offset:16896                    // 00000000966C: D89A4200 00004019
	ds_write_b64 v25, v[66:67] offset:17424                    // 000000009674: D89A4410 00004219
	ds_write_b64 v25, v[68:69] offset:17952                    // 00000000967C: D89A4620 00004419
	ds_write_b64 v25, v[70:71] offset:18480                    // 000000009684: D89A4830 00004619
	ds_write_b64 v25, v[72:73] offset:19008                    // 00000000968C: D89A4A40 00004819
	ds_write_b64 v25, v[74:75] offset:19536                    // 000000009694: D89A4C50 00004A19
	ds_write_b64 v25, v[76:77] offset:20064                    // 00000000969C: D89A4E60 00004C19
	ds_write_b64 v25, v[78:79] offset:20592                    // 0000000096A4: D89A5070 00004E19
	s_waitcnt lgkmcnt(0)                                       // 0000000096AC: BF8CC07F
	s_barrier                                                  // 0000000096B0: BF8A0000
	ds_read_b64 v[64:65], v24 offset:16896                     // 0000000096B4: D8EC4200 40000018
	ds_read_b64 v[66:67], v24 offset:17024                     // 0000000096BC: D8EC4280 42000018
	ds_read_b64 v[68:69], v24 offset:16928                     // 0000000096C4: D8EC4220 44000018
	ds_read_b64 v[70:71], v24 offset:17056                     // 0000000096CC: D8EC42A0 46000018
	ds_read_b64 v[72:73], v24 offset:16960                     // 0000000096D4: D8EC4240 48000018
	ds_read_b64 v[74:75], v24 offset:17088                     // 0000000096DC: D8EC42C0 4A000018
	ds_read_b64 v[76:77], v24 offset:16992                     // 0000000096E4: D8EC4260 4C000018
	ds_read_b64 v[78:79], v24 offset:17120                     // 0000000096EC: D8EC42E0 4E000018
	s_waitcnt lgkmcnt(0)                                       // 0000000096F4: BF8CC07F
	s_mov_b32 s70, s52                                         // 0000000096F8: BEC60034
	buffer_store_dwordx4 v[64:67], v5, s[36:39], 0 idxen       // 0000000096FC: E07C2000 80094005
	v_add_u32_e32 v5, s70, v5                                  // 000000009704: 680A0A46
	buffer_store_dwordx4 v[68:71], v5, s[36:39], 0 idxen       // 000000009708: E07C2000 80094405
	v_add_u32_e32 v5, s70, v5                                  // 000000009710: 680A0A46
	buffer_store_dwordx4 v[72:75], v5, s[36:39], 0 idxen       // 000000009714: E07C2000 80094805
	v_add_u32_e32 v5, s70, v5                                  // 00000000971C: 680A0A46
	buffer_store_dwordx4 v[76:79], v5, s[36:39], 0 idxen       // 000000009720: E07C2000 80094C05
	v_add_u32_e32 v5, s70, v5                                  // 000000009728: 680A0A46
	s_mul_i32 s60, 12, s70                                     // 00000000972C: 923C468C
	v_add_u32_e32 v5, s60, v5                                  // 000000009730: 680A0A3C
	s_barrier                                                  // 000000009734: BF8A0000
	s_cmp_ge_i32 2, s72                                        // 000000009738: BF034882
	s_cbranch_scc1 label_1719                                  // 00000000973C: BF8500B5
	v_accvgpr_read_b32 v28, a224                               // 000000009740: D3D8401C 180001E0
	v_accvgpr_read_b32 v29, a225                               // 000000009748: D3D8401D 180001E1
	v_mul_f32_e32 v28, s47, v28                                // 000000009750: 0A38382F
	v_mul_f32_e32 v29, s47, v29                                // 000000009754: 0A3A3A2F
	v_cvt_pkrtz_f16_f32 v80, v28, v29                          // 000000009758: D2960050 00023B1C
	v_accvgpr_read_b32 v28, a226                               // 000000009760: D3D8401C 180001E2
	v_accvgpr_read_b32 v29, a227                               // 000000009768: D3D8401D 180001E3
	v_mul_f32_e32 v28, s47, v28                                // 000000009770: 0A38382F
	v_mul_f32_e32 v29, s47, v29                                // 000000009774: 0A3A3A2F
	v_cvt_pkrtz_f16_f32 v81, v28, v29                          // 000000009778: D2960051 00023B1C
	v_accvgpr_read_b32 v28, a228                               // 000000009780: D3D8401C 180001E4
	v_accvgpr_read_b32 v29, a229                               // 000000009788: D3D8401D 180001E5
	v_mul_f32_e32 v28, s47, v28                                // 000000009790: 0A38382F
	v_mul_f32_e32 v29, s47, v29                                // 000000009794: 0A3A3A2F
	v_cvt_pkrtz_f16_f32 v82, v28, v29                          // 000000009798: D2960052 00023B1C
	v_accvgpr_read_b32 v28, a230                               // 0000000097A0: D3D8401C 180001E6
	v_accvgpr_read_b32 v29, a231                               // 0000000097A8: D3D8401D 180001E7
	v_mul_f32_e32 v28, s47, v28                                // 0000000097B0: 0A38382F
	v_mul_f32_e32 v29, s47, v29                                // 0000000097B4: 0A3A3A2F
	v_cvt_pkrtz_f16_f32 v83, v28, v29                          // 0000000097B8: D2960053 00023B1C
	v_accvgpr_read_b32 v28, a232                               // 0000000097C0: D3D8401C 180001E8
	v_accvgpr_read_b32 v29, a233                               // 0000000097C8: D3D8401D 180001E9
	v_mul_f32_e32 v28, s47, v28                                // 0000000097D0: 0A38382F
	v_mul_f32_e32 v29, s47, v29                                // 0000000097D4: 0A3A3A2F
	v_cvt_pkrtz_f16_f32 v84, v28, v29                          // 0000000097D8: D2960054 00023B1C
	v_accvgpr_read_b32 v28, a234                               // 0000000097E0: D3D8401C 180001EA
	v_accvgpr_read_b32 v29, a235                               // 0000000097E8: D3D8401D 180001EB
	v_mul_f32_e32 v28, s47, v28                                // 0000000097F0: 0A38382F
	v_mul_f32_e32 v29, s47, v29                                // 0000000097F4: 0A3A3A2F
	v_cvt_pkrtz_f16_f32 v85, v28, v29                          // 0000000097F8: D2960055 00023B1C
	v_accvgpr_read_b32 v28, a236                               // 000000009800: D3D8401C 180001EC
	v_accvgpr_read_b32 v29, a237                               // 000000009808: D3D8401D 180001ED
	v_mul_f32_e32 v28, s47, v28                                // 000000009810: 0A38382F
	v_mul_f32_e32 v29, s47, v29                                // 000000009814: 0A3A3A2F
	v_cvt_pkrtz_f16_f32 v86, v28, v29                          // 000000009818: D2960056 00023B1C
	v_accvgpr_read_b32 v28, a238                               // 000000009820: D3D8401C 180001EE
	v_accvgpr_read_b32 v29, a239                               // 000000009828: D3D8401D 180001EF
	v_mul_f32_e32 v28, s47, v28                                // 000000009830: 0A38382F
	v_mul_f32_e32 v29, s47, v29                                // 000000009834: 0A3A3A2F
	v_cvt_pkrtz_f16_f32 v87, v28, v29                          // 000000009838: D2960057 00023B1C
	v_accvgpr_read_b32 v28, a240                               // 000000009840: D3D8401C 180001F0
	v_accvgpr_read_b32 v29, a241                               // 000000009848: D3D8401D 180001F1
	v_mul_f32_e32 v28, s47, v28                                // 000000009850: 0A38382F
	v_mul_f32_e32 v29, s47, v29                                // 000000009854: 0A3A3A2F
	v_cvt_pkrtz_f16_f32 v88, v28, v29                          // 000000009858: D2960058 00023B1C
	v_accvgpr_read_b32 v28, a242                               // 000000009860: D3D8401C 180001F2
	v_accvgpr_read_b32 v29, a243                               // 000000009868: D3D8401D 180001F3
	v_mul_f32_e32 v28, s47, v28                                // 000000009870: 0A38382F
	v_mul_f32_e32 v29, s47, v29                                // 000000009874: 0A3A3A2F
	v_cvt_pkrtz_f16_f32 v89, v28, v29                          // 000000009878: D2960059 00023B1C
	v_accvgpr_read_b32 v28, a244                               // 000000009880: D3D8401C 180001F4
	v_accvgpr_read_b32 v29, a245                               // 000000009888: D3D8401D 180001F5
	v_mul_f32_e32 v28, s47, v28                                // 000000009890: 0A38382F
	v_mul_f32_e32 v29, s47, v29                                // 000000009894: 0A3A3A2F
	v_cvt_pkrtz_f16_f32 v90, v28, v29                          // 000000009898: D296005A 00023B1C
	v_accvgpr_read_b32 v28, a246                               // 0000000098A0: D3D8401C 180001F6
	v_accvgpr_read_b32 v29, a247                               // 0000000098A8: D3D8401D 180001F7
	v_mul_f32_e32 v28, s47, v28                                // 0000000098B0: 0A38382F
	v_mul_f32_e32 v29, s47, v29                                // 0000000098B4: 0A3A3A2F
	v_cvt_pkrtz_f16_f32 v91, v28, v29                          // 0000000098B8: D296005B 00023B1C
	v_accvgpr_read_b32 v28, a248                               // 0000000098C0: D3D8401C 180001F8
	v_accvgpr_read_b32 v29, a249                               // 0000000098C8: D3D8401D 180001F9
	v_mul_f32_e32 v28, s47, v28                                // 0000000098D0: 0A38382F
	v_mul_f32_e32 v29, s47, v29                                // 0000000098D4: 0A3A3A2F
	v_cvt_pkrtz_f16_f32 v92, v28, v29                          // 0000000098D8: D296005C 00023B1C
	v_accvgpr_read_b32 v28, a250                               // 0000000098E0: D3D8401C 180001FA
	v_accvgpr_read_b32 v29, a251                               // 0000000098E8: D3D8401D 180001FB
	v_mul_f32_e32 v28, s47, v28                                // 0000000098F0: 0A38382F
	v_mul_f32_e32 v29, s47, v29                                // 0000000098F4: 0A3A3A2F
	v_cvt_pkrtz_f16_f32 v93, v28, v29                          // 0000000098F8: D296005D 00023B1C
	v_accvgpr_read_b32 v28, a252                               // 000000009900: D3D8401C 180001FC
	v_accvgpr_read_b32 v29, a253                               // 000000009908: D3D8401D 180001FD
	v_mul_f32_e32 v28, s47, v28                                // 000000009910: 0A38382F
	v_mul_f32_e32 v29, s47, v29                                // 000000009914: 0A3A3A2F
	v_cvt_pkrtz_f16_f32 v94, v28, v29                          // 000000009918: D296005E 00023B1C
	v_accvgpr_read_b32 v28, a254                               // 000000009920: D3D8401C 180001FE
	v_accvgpr_read_b32 v29, a255                               // 000000009928: D3D8401D 180001FF
	v_mul_f32_e32 v28, s47, v28                                // 000000009930: 0A38382F
	v_mul_f32_e32 v29, s47, v29                                // 000000009934: 0A3A3A2F
	v_cvt_pkrtz_f16_f32 v95, v28, v29                          // 000000009938: D296005F 00023B1C
	ds_write_b64 v25, v[80:81] offset:33792                    // 000000009940: D89A8400 00005019
	ds_write_b64 v25, v[82:83] offset:34320                    // 000000009948: D89A8610 00005219
	ds_write_b64 v25, v[84:85] offset:34848                    // 000000009950: D89A8820 00005419
	ds_write_b64 v25, v[86:87] offset:35376                    // 000000009958: D89A8A30 00005619
	ds_write_b64 v25, v[88:89] offset:35904                    // 000000009960: D89A8C40 00005819
	ds_write_b64 v25, v[90:91] offset:36432                    // 000000009968: D89A8E50 00005A19
	ds_write_b64 v25, v[92:93] offset:36960                    // 000000009970: D89A9060 00005C19
	ds_write_b64 v25, v[94:95] offset:37488                    // 000000009978: D89A9270 00005E19
	s_waitcnt lgkmcnt(0)                                       // 000000009980: BF8CC07F
	s_barrier                                                  // 000000009984: BF8A0000
	ds_read_b64 v[80:81], v24 offset:33792                     // 000000009988: D8EC8400 50000018
	ds_read_b64 v[82:83], v24 offset:33920                     // 000000009990: D8EC8480 52000018
	ds_read_b64 v[84:85], v24 offset:33824                     // 000000009998: D8EC8420 54000018
	ds_read_b64 v[86:87], v24 offset:33952                     // 0000000099A0: D8EC84A0 56000018
	ds_read_b64 v[88:89], v24 offset:33856                     // 0000000099A8: D8EC8440 58000018
	ds_read_b64 v[90:91], v24 offset:33984                     // 0000000099B0: D8EC84C0 5A000018
	ds_read_b64 v[92:93], v24 offset:33888                     // 0000000099B8: D8EC8460 5C000018
	ds_read_b64 v[94:95], v24 offset:34016                     // 0000000099C0: D8EC84E0 5E000018
	s_waitcnt lgkmcnt(0)                                       // 0000000099C8: BF8CC07F
	s_mov_b32 s70, s52                                         // 0000000099CC: BEC60034
	buffer_store_dwordx4 v[80:83], v5, s[36:39], 0 idxen       // 0000000099D0: E07C2000 80095005
	v_add_u32_e32 v5, s70, v5                                  // 0000000099D8: 680A0A46
	buffer_store_dwordx4 v[84:87], v5, s[36:39], 0 idxen       // 0000000099DC: E07C2000 80095405
	v_add_u32_e32 v5, s70, v5                                  // 0000000099E4: 680A0A46
	buffer_store_dwordx4 v[88:91], v5, s[36:39], 0 idxen       // 0000000099E8: E07C2000 80095805
	v_add_u32_e32 v5, s70, v5                                  // 0000000099F0: 680A0A46
	buffer_store_dwordx4 v[92:95], v5, s[36:39], 0 idxen       // 0000000099F4: E07C2000 80095C05
	v_add_u32_e32 v5, s70, v5                                  // 0000000099FC: 680A0A46
	s_mul_i32 s60, 12, s70                                     // 000000009A00: 923C468C
	v_add_u32_e32 v5, s60, v5                                  // 000000009A04: 680A0A3C
	s_barrier                                                  // 000000009A08: BF8A0000
	s_cmp_ge_i32 3, s72                                        // 000000009A0C: BF034883
	s_cbranch_scc1 label_1719                                  // 000000009A10: BF850000

0000000000009a14 <label_1719>:
	v_mov_b32_e32 v28, v152                                    // 000000009A14: 7E380398
	v_mov_b32_e32 v29, v153                                    // 000000009A18: 7E3A0399
	v_cvt_pkrtz_f16_f32 v152, v28, v29                         // 000000009A1C: D2960098 00023B1C
	v_mov_b32_e32 v28, v154                                    // 000000009A24: 7E38039A
	v_mov_b32_e32 v29, v155                                    // 000000009A28: 7E3A039B
	v_cvt_pkrtz_f16_f32 v153, v28, v29                         // 000000009A2C: D2960099 00023B1C
	v_mov_b32_e32 v28, v156                                    // 000000009A34: 7E38039C
	v_mov_b32_e32 v29, v157                                    // 000000009A38: 7E3A039D
	v_cvt_pkrtz_f16_f32 v154, v28, v29                         // 000000009A3C: D296009A 00023B1C
	v_mov_b32_e32 v28, v158                                    // 000000009A44: 7E38039E
	v_mov_b32_e32 v29, v159                                    // 000000009A48: 7E3A039F
	v_cvt_pkrtz_f16_f32 v155, v28, v29                         // 000000009A4C: D296009B 00023B1C
	v_mov_b32_e32 v28, v160                                    // 000000009A54: 7E3803A0
	v_mov_b32_e32 v29, v161                                    // 000000009A58: 7E3A03A1
	v_cvt_pkrtz_f16_f32 v156, v28, v29                         // 000000009A5C: D296009C 00023B1C
	v_mov_b32_e32 v28, v162                                    // 000000009A64: 7E3803A2
	v_mov_b32_e32 v29, v163                                    // 000000009A68: 7E3A03A3
	v_cvt_pkrtz_f16_f32 v157, v28, v29                         // 000000009A6C: D296009D 00023B1C
	v_mov_b32_e32 v28, v164                                    // 000000009A74: 7E3803A4
	v_mov_b32_e32 v29, v165                                    // 000000009A78: 7E3A03A5
	v_cvt_pkrtz_f16_f32 v158, v28, v29                         // 000000009A7C: D296009E 00023B1C
	v_mov_b32_e32 v28, v166                                    // 000000009A84: 7E3803A6
	v_mov_b32_e32 v29, v167                                    // 000000009A88: 7E3A03A7
	v_cvt_pkrtz_f16_f32 v159, v28, v29                         // 000000009A8C: D296009F 00023B1C
	v_mov_b32_e32 v28, v168                                    // 000000009A94: 7E3803A8
	v_mov_b32_e32 v29, v169                                    // 000000009A98: 7E3A03A9
	v_cvt_pkrtz_f16_f32 v160, v28, v29                         // 000000009A9C: D29600A0 00023B1C
	v_mov_b32_e32 v28, v170                                    // 000000009AA4: 7E3803AA
	v_mov_b32_e32 v29, v171                                    // 000000009AA8: 7E3A03AB
	v_cvt_pkrtz_f16_f32 v161, v28, v29                         // 000000009AAC: D29600A1 00023B1C
	v_mov_b32_e32 v28, v172                                    // 000000009AB4: 7E3803AC
	v_mov_b32_e32 v29, v173                                    // 000000009AB8: 7E3A03AD
	v_cvt_pkrtz_f16_f32 v162, v28, v29                         // 000000009ABC: D29600A2 00023B1C
	v_mov_b32_e32 v28, v174                                    // 000000009AC4: 7E3803AE
	v_mov_b32_e32 v29, v175                                    // 000000009AC8: 7E3A03AF
	v_cvt_pkrtz_f16_f32 v163, v28, v29                         // 000000009ACC: D29600A3 00023B1C
	v_mov_b32_e32 v28, v176                                    // 000000009AD4: 7E3803B0
	v_mov_b32_e32 v29, v177                                    // 000000009AD8: 7E3A03B1
	v_cvt_pkrtz_f16_f32 v164, v28, v29                         // 000000009ADC: D29600A4 00023B1C
	v_mov_b32_e32 v28, v178                                    // 000000009AE4: 7E3803B2
	v_mov_b32_e32 v29, v179                                    // 000000009AE8: 7E3A03B3
	v_cvt_pkrtz_f16_f32 v165, v28, v29                         // 000000009AEC: D29600A5 00023B1C
	v_mov_b32_e32 v28, v180                                    // 000000009AF4: 7E3803B4
	v_mov_b32_e32 v29, v181                                    // 000000009AF8: 7E3A03B5
	v_cvt_pkrtz_f16_f32 v166, v28, v29                         // 000000009AFC: D29600A6 00023B1C
	v_mov_b32_e32 v28, v182                                    // 000000009B04: 7E3803B6
	v_mov_b32_e32 v29, v183                                    // 000000009B08: 7E3A03B7
	v_cvt_pkrtz_f16_f32 v167, v28, v29                         // 000000009B0C: D29600A7 00023B1C
	ds_write_b64 v25, v[152:153]                               // 000000009B14: D89A0000 00009819
	ds_write_b64 v25, v[154:155] offset:528                    // 000000009B1C: D89A0210 00009A19
	ds_write_b64 v25, v[156:157] offset:1056                   // 000000009B24: D89A0420 00009C19
	ds_write_b64 v25, v[158:159] offset:1584                   // 000000009B2C: D89A0630 00009E19
	ds_write_b64 v25, v[160:161] offset:2112                   // 000000009B34: D89A0840 0000A019
	ds_write_b64 v25, v[162:163] offset:2640                   // 000000009B3C: D89A0A50 0000A219
	ds_write_b64 v25, v[164:165] offset:3168                   // 000000009B44: D89A0C60 0000A419
	ds_write_b64 v25, v[166:167] offset:3696                   // 000000009B4C: D89A0E70 0000A619
	s_waitcnt lgkmcnt(0)                                       // 000000009B54: BF8CC07F
	s_barrier                                                  // 000000009B58: BF8A0000
	ds_read_b64 v[152:153], v24                                // 000000009B5C: D8EC0000 98000018
	ds_read_b64 v[154:155], v24 offset:128                     // 000000009B64: D8EC0080 9A000018
	ds_read_b64 v[156:157], v24 offset:32                      // 000000009B6C: D8EC0020 9C000018
	ds_read_b64 v[158:159], v24 offset:160                     // 000000009B74: D8EC00A0 9E000018
	ds_read_b64 v[160:161], v24 offset:64                      // 000000009B7C: D8EC0040 A0000018
	ds_read_b64 v[162:163], v24 offset:192                     // 000000009B84: D8EC00C0 A2000018
	ds_read_b64 v[164:165], v24 offset:96                      // 000000009B8C: D8EC0060 A4000018
	ds_read_b64 v[166:167], v24 offset:224                     // 000000009B94: D8EC00E0 A6000018
	s_waitcnt lgkmcnt(0)                                       // 000000009B9C: BF8CC07F
	s_mov_b32 s70, s53                                         // 000000009BA0: BEC60035
	buffer_store_dwordx4 v[152:155], v6, s[40:43], 0 idxen     // 000000009BA4: E07C2000 800A9806
	v_add_u32_e32 v6, s70, v6                                  // 000000009BAC: 680C0C46
	buffer_store_dwordx4 v[156:159], v6, s[40:43], 0 idxen     // 000000009BB0: E07C2000 800A9C06
	v_add_u32_e32 v6, s70, v6                                  // 000000009BB8: 680C0C46
	buffer_store_dwordx4 v[160:163], v6, s[40:43], 0 idxen     // 000000009BBC: E07C2000 800AA006
	v_add_u32_e32 v6, s70, v6                                  // 000000009BC4: 680C0C46
	buffer_store_dwordx4 v[164:167], v6, s[40:43], 0 idxen     // 000000009BC8: E07C2000 800AA406
	v_add_u32_e32 v6, s70, v6                                  // 000000009BD0: 680C0C46
	s_mul_i32 s60, 12, s70                                     // 000000009BD4: 923C468C
	v_add_u32_e32 v6, s60, v6                                  // 000000009BD8: 680C0C3C
	s_cmp_ge_i32 1, s72                                        // 000000009BDC: BF034881
	s_cbranch_scc1 label_1875                                  // 000000009BE0: BF8500E8
	v_mov_b32_e32 v28, v184                                    // 000000009BE4: 7E3803B8
	v_mov_b32_e32 v29, v185                                    // 000000009BE8: 7E3A03B9
	v_cvt_pkrtz_f16_f32 v168, v28, v29                         // 000000009BEC: D29600A8 00023B1C
	v_mov_b32_e32 v28, v186                                    // 000000009BF4: 7E3803BA
	v_mov_b32_e32 v29, v187                                    // 000000009BF8: 7E3A03BB
	v_cvt_pkrtz_f16_f32 v169, v28, v29                         // 000000009BFC: D29600A9 00023B1C
	v_mov_b32_e32 v28, v188                                    // 000000009C04: 7E3803BC
	v_mov_b32_e32 v29, v189                                    // 000000009C08: 7E3A03BD
	v_cvt_pkrtz_f16_f32 v170, v28, v29                         // 000000009C0C: D29600AA 00023B1C
	v_mov_b32_e32 v28, v190                                    // 000000009C14: 7E3803BE
	v_mov_b32_e32 v29, v191                                    // 000000009C18: 7E3A03BF
	v_cvt_pkrtz_f16_f32 v171, v28, v29                         // 000000009C1C: D29600AB 00023B1C
	v_mov_b32_e32 v28, v192                                    // 000000009C24: 7E3803C0
	v_mov_b32_e32 v29, v193                                    // 000000009C28: 7E3A03C1
	v_cvt_pkrtz_f16_f32 v172, v28, v29                         // 000000009C2C: D29600AC 00023B1C
	v_mov_b32_e32 v28, v194                                    // 000000009C34: 7E3803C2
	v_mov_b32_e32 v29, v195                                    // 000000009C38: 7E3A03C3
	v_cvt_pkrtz_f16_f32 v173, v28, v29                         // 000000009C3C: D29600AD 00023B1C
	v_mov_b32_e32 v28, v196                                    // 000000009C44: 7E3803C4
	v_mov_b32_e32 v29, v197                                    // 000000009C48: 7E3A03C5
	v_cvt_pkrtz_f16_f32 v174, v28, v29                         // 000000009C4C: D29600AE 00023B1C
	v_mov_b32_e32 v28, v198                                    // 000000009C54: 7E3803C6
	v_mov_b32_e32 v29, v199                                    // 000000009C58: 7E3A03C7
	v_cvt_pkrtz_f16_f32 v175, v28, v29                         // 000000009C5C: D29600AF 00023B1C
	v_mov_b32_e32 v28, v200                                    // 000000009C64: 7E3803C8
	v_mov_b32_e32 v29, v201                                    // 000000009C68: 7E3A03C9
	v_cvt_pkrtz_f16_f32 v176, v28, v29                         // 000000009C6C: D29600B0 00023B1C
	v_mov_b32_e32 v28, v202                                    // 000000009C74: 7E3803CA
	v_mov_b32_e32 v29, v203                                    // 000000009C78: 7E3A03CB
	v_cvt_pkrtz_f16_f32 v177, v28, v29                         // 000000009C7C: D29600B1 00023B1C
	v_mov_b32_e32 v28, v204                                    // 000000009C84: 7E3803CC
	v_mov_b32_e32 v29, v205                                    // 000000009C88: 7E3A03CD
	v_cvt_pkrtz_f16_f32 v178, v28, v29                         // 000000009C8C: D29600B2 00023B1C
	v_mov_b32_e32 v28, v206                                    // 000000009C94: 7E3803CE
	v_mov_b32_e32 v29, v207                                    // 000000009C98: 7E3A03CF
	v_cvt_pkrtz_f16_f32 v179, v28, v29                         // 000000009C9C: D29600B3 00023B1C
	v_mov_b32_e32 v28, v208                                    // 000000009CA4: 7E3803D0
	v_mov_b32_e32 v29, v209                                    // 000000009CA8: 7E3A03D1
	v_cvt_pkrtz_f16_f32 v180, v28, v29                         // 000000009CAC: D29600B4 00023B1C
	v_mov_b32_e32 v28, v210                                    // 000000009CB4: 7E3803D2
	v_mov_b32_e32 v29, v211                                    // 000000009CB8: 7E3A03D3
	v_cvt_pkrtz_f16_f32 v181, v28, v29                         // 000000009CBC: D29600B5 00023B1C
	v_mov_b32_e32 v28, v212                                    // 000000009CC4: 7E3803D4
	v_mov_b32_e32 v29, v213                                    // 000000009CC8: 7E3A03D5
	v_cvt_pkrtz_f16_f32 v182, v28, v29                         // 000000009CCC: D29600B6 00023B1C
	v_mov_b32_e32 v28, v214                                    // 000000009CD4: 7E3803D6
	v_mov_b32_e32 v29, v215                                    // 000000009CD8: 7E3A03D7
	v_cvt_pkrtz_f16_f32 v183, v28, v29                         // 000000009CDC: D29600B7 00023B1C
	ds_write_b64 v25, v[168:169] offset:16896                  // 000000009CE4: D89A4200 0000A819
	ds_write_b64 v25, v[170:171] offset:17424                  // 000000009CEC: D89A4410 0000AA19
	ds_write_b64 v25, v[172:173] offset:17952                  // 000000009CF4: D89A4620 0000AC19
	ds_write_b64 v25, v[174:175] offset:18480                  // 000000009CFC: D89A4830 0000AE19
	ds_write_b64 v25, v[176:177] offset:19008                  // 000000009D04: D89A4A40 0000B019
	ds_write_b64 v25, v[178:179] offset:19536                  // 000000009D0C: D89A4C50 0000B219
	ds_write_b64 v25, v[180:181] offset:20064                  // 000000009D14: D89A4E60 0000B419
	ds_write_b64 v25, v[182:183] offset:20592                  // 000000009D1C: D89A5070 0000B619
	s_waitcnt lgkmcnt(0)                                       // 000000009D24: BF8CC07F
	s_barrier                                                  // 000000009D28: BF8A0000
	ds_read_b64 v[168:169], v24 offset:16896                   // 000000009D2C: D8EC4200 A8000018
	ds_read_b64 v[170:171], v24 offset:17024                   // 000000009D34: D8EC4280 AA000018
	ds_read_b64 v[172:173], v24 offset:16928                   // 000000009D3C: D8EC4220 AC000018
	ds_read_b64 v[174:175], v24 offset:17056                   // 000000009D44: D8EC42A0 AE000018
	ds_read_b64 v[176:177], v24 offset:16960                   // 000000009D4C: D8EC4240 B0000018
	ds_read_b64 v[178:179], v24 offset:17088                   // 000000009D54: D8EC42C0 B2000018
	ds_read_b64 v[180:181], v24 offset:16992                   // 000000009D5C: D8EC4260 B4000018
	ds_read_b64 v[182:183], v24 offset:17120                   // 000000009D64: D8EC42E0 B6000018
	s_waitcnt lgkmcnt(0)                                       // 000000009D6C: BF8CC07F
	s_mov_b32 s70, s53                                         // 000000009D70: BEC60035
	buffer_store_dwordx4 v[168:171], v6, s[40:43], 0 idxen     // 000000009D74: E07C2000 800AA806
	v_add_u32_e32 v6, s70, v6                                  // 000000009D7C: 680C0C46
	buffer_store_dwordx4 v[172:175], v6, s[40:43], 0 idxen     // 000000009D80: E07C2000 800AAC06
	v_add_u32_e32 v6, s70, v6                                  // 000000009D88: 680C0C46
	buffer_store_dwordx4 v[176:179], v6, s[40:43], 0 idxen     // 000000009D8C: E07C2000 800AB006
	v_add_u32_e32 v6, s70, v6                                  // 000000009D94: 680C0C46
	buffer_store_dwordx4 v[180:183], v6, s[40:43], 0 idxen     // 000000009D98: E07C2000 800AB406
	v_add_u32_e32 v6, s70, v6                                  // 000000009DA0: 680C0C46
	s_mul_i32 s60, 12, s70                                     // 000000009DA4: 923C468C
	v_add_u32_e32 v6, s60, v6                                  // 000000009DA8: 680C0C3C
	s_cmp_ge_i32 2, s72                                        // 000000009DAC: BF034882
	s_cbranch_scc1 label_1875                                  // 000000009DB0: BF850074
	v_mov_b32_e32 v28, v216                                    // 000000009DB4: 7E3803D8
	v_mov_b32_e32 v29, v217                                    // 000000009DB8: 7E3A03D9
	v_cvt_pkrtz_f16_f32 v184, v28, v29                         // 000000009DBC: D29600B8 00023B1C
	v_mov_b32_e32 v28, v218                                    // 000000009DC4: 7E3803DA
	v_mov_b32_e32 v29, v219                                    // 000000009DC8: 7E3A03DB
	v_cvt_pkrtz_f16_f32 v185, v28, v29                         // 000000009DCC: D29600B9 00023B1C
	v_mov_b32_e32 v28, v220                                    // 000000009DD4: 7E3803DC
	v_mov_b32_e32 v29, v221                                    // 000000009DD8: 7E3A03DD
	v_cvt_pkrtz_f16_f32 v186, v28, v29                         // 000000009DDC: D29600BA 00023B1C
	v_mov_b32_e32 v28, v222                                    // 000000009DE4: 7E3803DE
	v_mov_b32_e32 v29, v223                                    // 000000009DE8: 7E3A03DF
	v_cvt_pkrtz_f16_f32 v187, v28, v29                         // 000000009DEC: D29600BB 00023B1C
	v_mov_b32_e32 v28, v224                                    // 000000009DF4: 7E3803E0
	v_mov_b32_e32 v29, v225                                    // 000000009DF8: 7E3A03E1
	v_cvt_pkrtz_f16_f32 v188, v28, v29                         // 000000009DFC: D29600BC 00023B1C
	v_mov_b32_e32 v28, v226                                    // 000000009E04: 7E3803E2
	v_mov_b32_e32 v29, v227                                    // 000000009E08: 7E3A03E3
	v_cvt_pkrtz_f16_f32 v189, v28, v29                         // 000000009E0C: D29600BD 00023B1C
	v_mov_b32_e32 v28, v228                                    // 000000009E14: 7E3803E4
	v_mov_b32_e32 v29, v229                                    // 000000009E18: 7E3A03E5
	v_cvt_pkrtz_f16_f32 v190, v28, v29                         // 000000009E1C: D29600BE 00023B1C
	v_mov_b32_e32 v28, v230                                    // 000000009E24: 7E3803E6
	v_mov_b32_e32 v29, v231                                    // 000000009E28: 7E3A03E7
	v_cvt_pkrtz_f16_f32 v191, v28, v29                         // 000000009E2C: D29600BF 00023B1C
	v_mov_b32_e32 v28, v232                                    // 000000009E34: 7E3803E8
	v_mov_b32_e32 v29, v233                                    // 000000009E38: 7E3A03E9
	v_cvt_pkrtz_f16_f32 v192, v28, v29                         // 000000009E3C: D29600C0 00023B1C
	v_mov_b32_e32 v28, v234                                    // 000000009E44: 7E3803EA
	v_mov_b32_e32 v29, v235                                    // 000000009E48: 7E3A03EB
	v_cvt_pkrtz_f16_f32 v193, v28, v29                         // 000000009E4C: D29600C1 00023B1C
	v_mov_b32_e32 v28, v236                                    // 000000009E54: 7E3803EC
	v_mov_b32_e32 v29, v237                                    // 000000009E58: 7E3A03ED
	v_cvt_pkrtz_f16_f32 v194, v28, v29                         // 000000009E5C: D29600C2 00023B1C
	v_mov_b32_e32 v28, v238                                    // 000000009E64: 7E3803EE
	v_mov_b32_e32 v29, v239                                    // 000000009E68: 7E3A03EF
	v_cvt_pkrtz_f16_f32 v195, v28, v29                         // 000000009E6C: D29600C3 00023B1C
	v_mov_b32_e32 v28, v240                                    // 000000009E74: 7E3803F0
	v_mov_b32_e32 v29, v241                                    // 000000009E78: 7E3A03F1
	v_cvt_pkrtz_f16_f32 v196, v28, v29                         // 000000009E7C: D29600C4 00023B1C
	v_mov_b32_e32 v28, v242                                    // 000000009E84: 7E3803F2
	v_mov_b32_e32 v29, v243                                    // 000000009E88: 7E3A03F3
	v_cvt_pkrtz_f16_f32 v197, v28, v29                         // 000000009E8C: D29600C5 00023B1C
	v_mov_b32_e32 v28, v244                                    // 000000009E94: 7E3803F4
	v_mov_b32_e32 v29, v245                                    // 000000009E98: 7E3A03F5
	v_cvt_pkrtz_f16_f32 v198, v28, v29                         // 000000009E9C: D29600C6 00023B1C
	v_mov_b32_e32 v28, v246                                    // 000000009EA4: 7E3803F6
	v_mov_b32_e32 v29, v247                                    // 000000009EA8: 7E3A03F7
	v_cvt_pkrtz_f16_f32 v199, v28, v29                         // 000000009EAC: D29600C7 00023B1C
	ds_write_b64 v25, v[184:185] offset:33792                  // 000000009EB4: D89A8400 0000B819
	ds_write_b64 v25, v[186:187] offset:34320                  // 000000009EBC: D89A8610 0000BA19
	ds_write_b64 v25, v[188:189] offset:34848                  // 000000009EC4: D89A8820 0000BC19
	ds_write_b64 v25, v[190:191] offset:35376                  // 000000009ECC: D89A8A30 0000BE19
	ds_write_b64 v25, v[192:193] offset:35904                  // 000000009ED4: D89A8C40 0000C019
	ds_write_b64 v25, v[194:195] offset:36432                  // 000000009EDC: D89A8E50 0000C219
	ds_write_b64 v25, v[196:197] offset:36960                  // 000000009EE4: D89A9060 0000C419
	ds_write_b64 v25, v[198:199] offset:37488                  // 000000009EEC: D89A9270 0000C619
	s_waitcnt lgkmcnt(0)                                       // 000000009EF4: BF8CC07F
	s_barrier                                                  // 000000009EF8: BF8A0000
	ds_read_b64 v[184:185], v24 offset:33792                   // 000000009EFC: D8EC8400 B8000018
	ds_read_b64 v[186:187], v24 offset:33920                   // 000000009F04: D8EC8480 BA000018
	ds_read_b64 v[188:189], v24 offset:33824                   // 000000009F0C: D8EC8420 BC000018
	ds_read_b64 v[190:191], v24 offset:33952                   // 000000009F14: D8EC84A0 BE000018
	ds_read_b64 v[192:193], v24 offset:33856                   // 000000009F1C: D8EC8440 C0000018
	ds_read_b64 v[194:195], v24 offset:33984                   // 000000009F24: D8EC84C0 C2000018
	ds_read_b64 v[196:197], v24 offset:33888                   // 000000009F2C: D8EC8460 C4000018
	ds_read_b64 v[198:199], v24 offset:34016                   // 000000009F34: D8EC84E0 C6000018
	s_waitcnt lgkmcnt(0)                                       // 000000009F3C: BF8CC07F
	s_mov_b32 s70, s53                                         // 000000009F40: BEC60035
	buffer_store_dwordx4 v[184:187], v6, s[40:43], 0 idxen     // 000000009F44: E07C2000 800AB806
	v_add_u32_e32 v6, s70, v6                                  // 000000009F4C: 680C0C46
	buffer_store_dwordx4 v[188:191], v6, s[40:43], 0 idxen     // 000000009F50: E07C2000 800ABC06
	v_add_u32_e32 v6, s70, v6                                  // 000000009F58: 680C0C46
	buffer_store_dwordx4 v[192:195], v6, s[40:43], 0 idxen     // 000000009F5C: E07C2000 800AC006
	v_add_u32_e32 v6, s70, v6                                  // 000000009F64: 680C0C46
	buffer_store_dwordx4 v[196:199], v6, s[40:43], 0 idxen     // 000000009F68: E07C2000 800AC406
	v_add_u32_e32 v6, s70, v6                                  // 000000009F70: 680C0C46
	s_mul_i32 s60, 12, s70                                     // 000000009F74: 923C468C
	v_add_u32_e32 v6, s60, v6                                  // 000000009F78: 680C0C3C
	s_cmp_ge_i32 3, s72                                        // 000000009F7C: BF034883
	s_cbranch_scc1 label_1875                                  // 000000009F80: BF850000

0000000000009f84 <label_1875>:
	s_waitcnt vmcnt(0) expcnt(0) lgkmcnt(0)                    // 000000009F84: BF8C0000
	s_sub_i32 s60, s77, 1                                      // 000000009F88: 81BC814D
	s_sub_i32 s2, s60, s2                                      // 000000009F8C: 8182023C
	s_addk_i32 s75, 0x1                                        // 000000009F90: B74B0001
	s_cmp_lt_i32 s75, s76                                      // 000000009F94: BF044C4B
	s_cbranch_scc1 label_015D                                  // 000000009F98: BF85E8F6

0000000000009f9c <label_187B>:
	s_waitcnt vmcnt(0) expcnt(0) lgkmcnt(0)                    // 000000009F9C: BF8C0000
	s_endpgm                                                   // 000000009FA0: BF810000
